;; amdgpu-corpus repo=zjin-lcf/HeCBench kind=compiled arch=gfx1250 opt=O3
	.amdgcn_target "amdgcn-amd-amdhsa--gfx1250"
	.amdhsa_code_object_version 6
	.text
	.protected	_Z20decrypt_vmk_with_macjPiPKhS1_S1_S1_S1_iiiijjjjPKjS3_ ; -- Begin function _Z20decrypt_vmk_with_macjPiPKhS1_S1_S1_S1_iiiijjjjPKjS3_
	.globl	_Z20decrypt_vmk_with_macjPiPKhS1_S1_S1_S1_iiiijjjjPKjS3_
	.p2align	8
	.type	_Z20decrypt_vmk_with_macjPiPKhS1_S1_S1_S1_iiiijjjjPKjS3_,@function
_Z20decrypt_vmk_with_macjPiPKhS1_S1_S1_S1_iiiijjjjPKjS3_: ; @_Z20decrypt_vmk_with_macjPiPKhS1_S1_S1_S1_iiiijjjjPKjS3_
; %bb.0:
	s_clause 0x1
	s_load_b32 s2, s[0:1], 0x74
	s_load_b32 s3, s[0:1], 0x0
	s_bfe_u32 s4, ttmp6, 0x4000c
	s_and_b32 s5, ttmp6, 15
	s_add_co_i32 s4, s4, 1
	s_getreg_b32 s6, hwreg(HW_REG_IB_STS2, 6, 4)
	s_mul_i32 s4, ttmp9, s4
	s_delay_alu instid0(SALU_CYCLE_1) | instskip(SKIP_4) | instid1(SALU_CYCLE_1)
	s_add_co_i32 s5, s5, s4
	s_wait_kmcnt 0x0
	s_and_b32 s2, s2, 0xffff
	s_cmp_eq_u32 s6, 0
	s_cselect_b32 s4, ttmp9, s5
	v_mad_u32 v0, s4, s2, v0
	s_mov_b32 s2, exec_lo
	s_delay_alu instid0(VALU_DEP_1)
	v_cmpx_gt_u32_e64 s3, v0
	s_cbranch_execz .LBB0_10
; %bb.1:
	s_clause 0x1
	s_load_b64 s[2:3], s[0:1], 0x58
	s_load_b64 s[34:35], s[0:1], 0x30
	v_lshlrev_b32_e32 v0, 5, v0
	s_mov_b32 s33, 0x9b05688c
	s_load_b256 s[24:31], s[0:1], 0x10
	s_delay_alu instid0(VALU_DEP_1) | instskip(SKIP_1) | instid1(VALU_DEP_1)
	v_ashrrev_i32_e32 v1, 31, v0
	s_wait_kmcnt 0x0
	v_lshl_add_u64 v[16:17], v[0:1], 2, s[2:3]
	s_clause 0x3
	global_load_b128 v[12:15], v[16:17], off
	global_load_b128 v[0:3], v[16:17], off offset:48
	global_load_b128 v[8:11], v[16:17], off offset:16
	;; [unrolled: 1-line block ×3, first 2 shown]
	s_wait_loadcnt 0x3
	v_add_nc_u32_e32 v21, 0x98c7e2a2, v12
	v_add_nc_u32_e32 v23, 0xfc08884d, v12
	s_wait_loadcnt 0x2
	v_cmp_ne_u32_e32 vcc_lo, -1, v2
	s_wait_loadcnt 0x1
	v_alignbit_b32 v48, v11, v11, 18
	v_lshrrev_b32_e32 v39, 3, v8
	v_alignbit_b32 v18, v21, v21, 6
	v_alignbit_b32 v19, v21, v21, 11
	;; [unrolled: 1-line block ×3, first 2 shown]
	v_bitop3_b32 v22, v21, s33, 0xca0b3af3 bitop3:0x6c
	v_alignbit_b32 v24, v23, v23, 22
	v_and_b32_e32 v25, 0xd16e48e2, v23
	v_cndmask_b32_e32 v2, 0, v2, vcc_lo
	v_xor3_b32 v18, v19, v18, v20
	v_alignbit_b32 v20, v23, v23, 13
	s_delay_alu instid0(VALU_DEP_2) | instskip(SKIP_1) | instid1(VALU_DEP_2)
	v_add3_u32 v19, v13, v22, v18
	v_alignbit_b32 v18, v23, v23, 2
	v_add_nc_u32_e32 v22, 0xcd2a11ae, v19
	s_delay_alu instid0(VALU_DEP_2) | instskip(SKIP_1) | instid1(VALU_DEP_3)
	v_xor_b32_e32 v18, v20, v18
	v_alignbit_b32 v20, v13, v13, 7
	v_alignbit_b32 v26, v22, v22, 6
	;; [unrolled: 1-line block ×4, first 2 shown]
	v_bitop3_b32 v29, v22, 0x510e527f, v21 bitop3:0xac
	v_xad_u32 v24, v18, v24, v25
	v_alignbit_b32 v25, v13, v13, 18
	v_lshrrev_b32_e32 v18, 3, v13
	v_xor3_b32 v26, v27, v26, v28
	v_alignbit_b32 v27, v14, v14, 7
	v_add3_u32 v24, v19, v24, 0xbabcc441
	v_alignbit_b32 v28, v14, v14, 18
	v_lshrrev_b32_e32 v19, 3, v14
	v_add3_u32 v26, v14, v29, v26
	v_alignbit_b32 v29, v3, v3, 17
	v_alignbit_b32 v31, v24, v24, 2
	;; [unrolled: 1-line block ×3, first 2 shown]
	v_xor_b32_e32 v34, v23, v24
	v_add_nc_u32_e32 v30, 0xc2e12e0, v26
	v_alignbit_b32 v33, v24, v24, 22
	v_xor_b32_e32 v27, v28, v27
	v_xor_b32_e32 v31, v32, v31
	;; [unrolled: 1-line block ×3, first 2 shown]
	v_alignbit_b32 v35, v30, v30, 6
	v_alignbit_b32 v36, v30, v30, 11
	;; [unrolled: 1-line block ×3, first 2 shown]
	v_bitop3_b32 v21, v30, v21, v22 bitop3:0xac
	v_xad_u32 v18, v20, v18, v12
	s_delay_alu instid0(VALU_DEP_3)
	v_xor3_b32 v35, v36, v35, v37
	v_lshrrev_b32_e32 v36, 10, v3
	v_bfi_b32 v32, v34, 0x6a09e667, v24
	v_alignbit_b32 v34, v3, v3, 19
	v_alignbit_b32 v37, v8, v8, 18
	v_add3_u32 v21, v15, v21, v35
	s_delay_alu instid0(VALU_DEP_4) | instskip(SKIP_2) | instid1(VALU_DEP_4)
	v_xad_u32 v31, v31, v33, v32
	v_alignbit_b32 v32, v15, v15, 7
	v_alignbit_b32 v33, v15, v15, 18
	v_add_nc_u32_e32 v38, 0xa4ce148b, v21
	v_xor3_b32 v29, v34, v29, v36
	v_add3_u32 v26, v26, v31, 0x50c6645b
	v_lshrrev_b32_e32 v35, 3, v15
	v_alignbit_b32 v31, v8, v8, 7
	v_alignbit_b32 v43, v38, v38, 6
	;; [unrolled: 1-line block ×5, first 2 shown]
	v_xor_b32_e32 v42, v24, v26
	v_alignbit_b32 v45, v38, v38, 25
	v_bitop3_b32 v46, v38, v22, v30 bitop3:0xac
	v_alignbit_b32 v47, v26, v26, 22
	v_xor_b32_e32 v40, v41, v40
	v_bfi_b32 v41, v42, v23, v26
	v_xor3_b32 v42, v44, v43, v45
	v_add3_u32 v43, v12, v8, v46
	v_lshrrev_b32_e32 v46, 3, v9
	v_alignbit_b32 v44, v9, v9, 7
	v_xad_u32 v40, v40, v47, v41
	v_alignbit_b32 v45, v9, v9, 18
	v_add3_u32 v41, v43, v42, 0xd21ea4fd
	v_lshrrev_b32_e32 v47, 3, v10
	v_alignbit_b32 v42, v10, v10, 7
	v_add3_u32 v21, v21, v40, 0x3ac42e24
	v_lshrrev_b32_e32 v49, 3, v11
	v_add_nc_u32_e32 v23, v41, v23
	v_alignbit_b32 v43, v10, v10, 18
	v_alignbit_b32 v40, v11, v11, 7
	;; [unrolled: 1-line block ×7, first 2 shown]
	v_bitop3_b32 v54, v23, v30, v38 bitop3:0xac
	v_alignbit_b32 v56, v21, v21, 22
	v_xor_b32_e32 v57, v26, v21
	s_delay_alu instid0(VALU_DEP_4) | instskip(NEXT) | instid1(VALU_DEP_4)
	v_xor3_b32 v51, v52, v51, v53
	v_add3_u32 v22, v9, v22, v54
	s_delay_alu instid0(VALU_DEP_4) | instskip(NEXT) | instid1(VALU_DEP_4)
	v_xor3_b32 v50, v55, v50, v56
	v_bfi_b32 v54, v57, v24, v21
	s_wait_loadcnt 0x0
	v_alignbit_b32 v55, v5, v5, 7
	v_alignbit_b32 v56, v5, v5, 18
	v_add3_u32 v22, v22, v51, 0x59f111f1
	v_alignbit_b32 v57, v6, v6, 18
	v_add3_u32 v41, v50, v54, v41
	v_alignbit_b32 v54, v6, v6, 7
	v_alignbit_b32 v52, v4, v4, 7
	v_add_nc_u32_e32 v24, v22, v24
	v_alignbit_b32 v53, v4, v4, 18
	v_xor_b32_e32 v65, v21, v41
	v_alignbit_b32 v58, v41, v41, 2
	v_alignbit_b32 v63, v41, v41, 13
	;; [unrolled: 1-line block ×5, first 2 shown]
	v_bitop3_b32 v62, v24, v38, v23 bitop3:0xac
	v_alignbit_b32 v64, v41, v41, 22
	v_dual_lshrrev_b32 v51, 3, v4 :: v_dual_lshrrev_b32 v50, 3, v5
	s_delay_alu instid0(VALU_DEP_4) | instskip(NEXT) | instid1(VALU_DEP_4)
	v_xor3_b32 v59, v60, v59, v61
	v_add3_u32 v30, v10, v30, v62
	s_delay_alu instid0(VALU_DEP_4)
	v_xor3_b32 v58, v63, v58, v64
	v_bfi_b32 v62, v65, v26, v41
	v_alignbit_b32 v64, v0, v0, 7
	v_alignbit_b32 v61, v7, v7, 7
	v_add3_u32 v30, v30, v59, 0x923f82a4
	v_alignbit_b32 v59, v7, v7, 18
	v_add3_u32 v22, v58, v62, v22
	v_lshrrev_b32_e32 v62, 3, v0
	s_delay_alu instid0(VALU_DEP_4) | instskip(SKIP_1) | instid1(VALU_DEP_4)
	v_dual_add_nc_u32 v26, v30, v26 :: v_dual_bitop2_b32 v28, v33, v32 bitop3:0x14
	v_alignbit_b32 v58, v0, v0, 18
	v_alignbit_b32 v66, v22, v22, 2
	;; [unrolled: 1-line block ×7, first 2 shown]
	v_bitop3_b32 v70, v26, v23, v24 bitop3:0xac
	v_xor_b32_e32 v73, v41, v22
	v_xor3_b32 v66, v71, v66, v72
	v_lshrrev_b32_e32 v71, 3, v1
	v_xor3_b32 v67, v68, v67, v69
	v_add3_u32 v38, v11, v38, v70
	v_bfi_b32 v70, v73, v21, v22
	v_lshrrev_b32_e32 v73, 10, v2
	v_dual_lshrrev_b32 v60, 3, v6 :: v_dual_lshrrev_b32 v63, 3, v7
	s_delay_alu instid0(VALU_DEP_4)
	v_add3_u32 v38, v38, v67, 0xab1c5ed5
	v_lshrrev_b32_e32 v72, 3, v3
	v_add3_u32 v30, v66, v70, v30
	v_xor_b32_e32 v31, v37, v31
	v_alignbit_b32 v66, v2, v2, 17
	v_add_nc_u32_e32 v21, v38, v21
	v_alignbit_b32 v70, v2, v2, 19
	v_alignbit_b32 v74, v30, v30, 2
	;; [unrolled: 1-line block ×7, first 2 shown]
	v_bitop3_b32 v78, v21, v24, v26 bitop3:0xac
	v_xor3_b32 v25, v79, v74, v80
	v_alignbit_b32 v65, v1, v1, 7
	v_alignbit_b32 v68, v1, v1, 18
	v_xor3_b32 v75, v76, v75, v77
	v_add3_u32 v23, v4, v23, v78
	v_alignbit_b32 v69, v3, v3, 7
	v_alignbit_b32 v67, v3, v3, 18
	s_delay_alu instid0(VALU_DEP_3) | instskip(NEXT) | instid1(VALU_DEP_1)
	v_add3_u32 v23, v23, v75, 0xd807aa98
	v_dual_add_nc_u32 v32, v23, v41 :: v_dual_bitop2_b32 v81, v22, v30 bitop3:0x14
	s_delay_alu instid0(VALU_DEP_1) | instskip(NEXT) | instid1(VALU_DEP_2)
	v_bfi_b32 v34, v81, v41, v30
	v_alignbit_b32 v41, v32, v32, 25
	s_delay_alu instid0(VALU_DEP_2)
	v_add3_u32 v25, v25, v34, v38
	v_xor_b32_e32 v33, v45, v44
	v_xor_b32_e32 v34, v43, v42
	v_bitop3_b32 v42, v32, v26, v21 bitop3:0xac
	v_alignbit_b32 v38, v32, v32, 6
	v_alignbit_b32 v37, v25, v25, 2
	;; [unrolled: 1-line block ×4, first 2 shown]
	v_xor_b32_e32 v45, v30, v25
	v_add3_u32 v24, v5, v24, v42
	s_delay_alu instid0(VALU_DEP_3) | instskip(NEXT) | instid1(VALU_DEP_3)
	v_xor3_b32 v37, v43, v37, v44
	v_bfi_b32 v42, v45, v22, v25
	v_xor_b32_e32 v44, v58, v64
	s_delay_alu instid0(VALU_DEP_2) | instskip(SKIP_2) | instid1(VALU_DEP_3)
	v_add3_u32 v37, v37, v42, v23
	v_xor_b32_e32 v36, v48, v40
	v_alignbit_b32 v40, v32, v32, 11
	v_xor_b32_e32 v58, v25, v37
	s_delay_alu instid0(VALU_DEP_2) | instskip(SKIP_2) | instid1(VALU_DEP_3)
	v_xor3_b32 v38, v40, v38, v41
	v_xor_b32_e32 v41, v56, v55
	v_alignbit_b32 v56, v37, v37, 13
	v_add3_u32 v24, v24, v38, 0x12835b01
	v_xor_b32_e32 v38, v57, v54
	v_alignbit_b32 v57, v37, v37, 22
	s_delay_alu instid0(VALU_DEP_3) | instskip(SKIP_2) | instid1(VALU_DEP_3)
	v_add_nc_u32_e32 v42, v24, v22
	v_alignbit_b32 v22, v37, v37, 2
	v_xad_u32 v20, v28, v35, v14
	v_bitop3_b32 v55, v42, v21, v32 bitop3:0xac
	s_delay_alu instid0(VALU_DEP_3)
	v_xor3_b32 v22, v56, v22, v57
	v_alignbit_b32 v23, v42, v42, 6
	v_alignbit_b32 v54, v42, v42, 25
	v_xor3_b32 v56, v70, v66, v73
	v_add3_u32 v26, v6, v26, v55
	v_bfi_b32 v55, v58, v30, v37
	s_delay_alu instid0(VALU_DEP_3) | instskip(NEXT) | instid1(VALU_DEP_2)
	v_add3_u32 v18, v18, v5, v56
	v_add3_u32 v55, v22, v55, v24
	v_xor_b32_e32 v40, v53, v52
	v_alignbit_b32 v53, v42, v42, 11
	v_alignbit_b32 v52, v2, v2, 7
	s_delay_alu instid0(VALU_DEP_4) | instskip(NEXT) | instid1(VALU_DEP_3)
	v_alignbit_b32 v28, v55, v55, 22
	v_xor3_b32 v23, v53, v23, v54
	v_lshrrev_b32_e32 v54, 3, v2
	v_xad_u32 v13, v27, v19, v13
	v_xad_u32 v19, v33, v46, v8
	v_alignbit_b32 v8, v55, v55, 2
	v_add3_u32 v26, v26, v23, 0x243185be
	v_alignbit_b32 v27, v55, v55, 13
	v_alignbit_b32 v53, v2, v2, 18
	v_add3_u32 v13, v13, v6, v29
	v_alignbit_b32 v29, v18, v18, 17
	v_add_nc_u32_e32 v23, v26, v30
	v_xad_u32 v22, v31, v39, v15
	v_xor_b32_e32 v30, v37, v55
	v_xor3_b32 v8, v27, v8, v28
	s_delay_alu instid0(VALU_DEP_4) | instskip(SKIP_3) | instid1(VALU_DEP_2)
	v_alignbit_b32 v12, v23, v23, 6
	v_alignbit_b32 v14, v23, v23, 11
	;; [unrolled: 1-line block ×3, first 2 shown]
	v_bitop3_b32 v24, v23, v32, v42 bitop3:0xac
	v_xor3_b32 v12, v14, v12, v15
	s_delay_alu instid0(VALU_DEP_2) | instskip(SKIP_2) | instid1(VALU_DEP_3)
	v_add3_u32 v15, v7, v21, v24
	v_xad_u32 v21, v34, v47, v9
	v_bfi_b32 v9, v30, v25, v55
	v_add3_u32 v27, v15, v12, 0x550c7dc3
	v_xad_u32 v12, v41, v50, v4
	s_delay_alu instid0(VALU_DEP_3)
	v_add3_u32 v26, v8, v9, v26
	v_xad_u32 v15, v40, v51, v11
	v_xad_u32 v11, v38, v60, v5
	v_add_nc_u32_e32 v24, v27, v25
	v_alignbit_b32 v40, v13, v13, 18
	v_alignbit_b32 v25, v26, v26, 2
	v_alignbit_b32 v33, v26, v26, 13
	v_alignbit_b32 v34, v26, v26, 22
	v_alignbit_b32 v4, v24, v24, 6
	v_alignbit_b32 v28, v24, v24, 11
	v_alignbit_b32 v30, v24, v24, 25
	v_bitop3_b32 v31, v24, v42, v23 bitop3:0xac
	v_xor_b32_e32 v35, v55, v26
	v_xor3_b32 v25, v33, v25, v34
	s_delay_alu instid0(VALU_DEP_4) | instskip(NEXT) | instid1(VALU_DEP_4)
	v_xor3_b32 v28, v28, v4, v30
	v_add3_u32 v30, v0, v32, v31
	s_delay_alu instid0(VALU_DEP_4) | instskip(SKIP_1) | instid1(VALU_DEP_3)
	v_bfi_b32 v32, v35, v37, v26
	v_xor_b32_e32 v31, v53, v52
	v_add3_u32 v35, v30, v28, 0x72be5d74
	s_delay_alu instid0(VALU_DEP_3) | instskip(SKIP_1) | instid1(VALU_DEP_4)
	v_add3_u32 v28, v25, v32, v27
	v_xor_b32_e32 v43, v59, v61
	v_xad_u32 v5, v31, v54, v1
	v_alignbit_b32 v30, v18, v18, 19
	v_lshrrev_b32_e32 v31, 10, v18
	v_alignbit_b32 v25, v28, v28, 2
	v_xad_u32 v9, v43, v63, v6
	v_add_nc_u32_e32 v6, v35, v37
	v_xad_u32 v14, v36, v49, v10
	v_alignbit_b32 v36, v28, v28, 13
	v_alignbit_b32 v37, v28, v28, 22
	v_xor_b32_e32 v38, v26, v28
	v_alignbit_b32 v27, v6, v6, 6
	v_alignbit_b32 v32, v6, v6, 11
	;; [unrolled: 1-line block ×3, first 2 shown]
	v_bitop3_b32 v34, v6, v23, v24 bitop3:0xac
	v_xor3_b32 v25, v36, v25, v37
	v_lshrrev_b32_e32 v36, 10, v13
	v_bfi_b32 v39, v38, v55, v28
	v_xor3_b32 v27, v32, v27, v33
	v_add3_u32 v34, v1, v42, v34
	v_alignbit_b32 v32, v13, v13, 17
	v_alignbit_b32 v33, v13, v13, 19
	v_xor3_b32 v29, v30, v29, v31
	v_xad_u32 v10, v44, v62, v7
	v_add3_u32 v34, v34, v27, 0x80deb1fe
	v_add3_u32 v27, v25, v39, v35
	v_xor3_b32 v32, v33, v32, v36
	v_add3_u32 v29, v20, v7, v29
	v_alignbit_b32 v37, v18, v18, 7
	v_add_nc_u32_e32 v25, v34, v55
	v_alignbit_b32 v38, v18, v18, 18
	v_add3_u32 v7, v22, v0, v32
	v_xor_b32_e32 v45, v68, v65
	v_xor_b32_e32 v48, v67, v69
	v_alignbit_b32 v42, v25, v25, 6
	v_alignbit_b32 v43, v25, v25, 11
	;; [unrolled: 1-line block ×3, first 2 shown]
	v_xad_u32 v8, v45, v71, v0
	v_bitop3_b32 v45, v25, v24, v6 bitop3:0xac
	v_xad_u32 v4, v48, v72, v2
	v_alignbit_b32 v41, v27, v27, 2
	v_xor3_b32 v42, v43, v42, v44
	v_alignbit_b32 v46, v27, v27, 13
	v_add3_u32 v23, v2, v23, v45
	v_alignbit_b32 v47, v27, v27, 22
	v_dual_lshrrev_b32 v35, 3, v18 :: v_dual_bitop2_b32 v48, v28, v27 bitop3:0x14
	v_xor_b32_e32 v33, v38, v37
	s_delay_alu instid0(VALU_DEP_4) | instskip(NEXT) | instid1(VALU_DEP_4)
	v_add3_u32 v23, v23, v42, 0x9bdc06a7
	v_xor3_b32 v30, v46, v41, v47
	s_delay_alu instid0(VALU_DEP_4) | instskip(SKIP_3) | instid1(VALU_DEP_4)
	v_bfi_b32 v31, v48, v26, v27
	v_alignbit_b32 v39, v13, v13, 7
	v_xad_u32 v22, v33, v35, v3
	v_dual_add_nc_u32 v26, v23, v26 :: v_dual_lshrrev_b32 v43, 3, v13
	v_add3_u32 v30, v30, v31, v34
	s_delay_alu instid0(VALU_DEP_4) | instskip(NEXT) | instid1(VALU_DEP_3)
	v_xor_b32_e32 v36, v40, v39
	v_alignbit_b32 v20, v26, v26, 6
	v_alignbit_b32 v31, v26, v26, 11
	;; [unrolled: 1-line block ×3, first 2 shown]
	v_bitop3_b32 v33, v26, v6, v25 bitop3:0xac
	v_xor_b32_e32 v37, v27, v30
	v_alignbit_b32 v0, v30, v30, 2
	v_alignbit_b32 v34, v30, v30, 13
	v_xor3_b32 v31, v31, v20, v32
	v_add3_u32 v24, v3, v24, v33
	v_alignbit_b32 v35, v30, v30, 22
	v_bfi_b32 v33, v37, v28, v30
	v_xad_u32 v20, v36, v43, v18
	v_alignbit_b32 v32, v29, v29, 17
	v_add3_u32 v24, v24, v31, 0xc19bf174
	v_xor3_b32 v0, v34, v0, v35
	v_alignbit_b32 v31, v29, v29, 19
	v_lshrrev_b32_e32 v34, 10, v29
	v_alignbit_b32 v35, v7, v7, 17
	v_add_nc_u32_e32 v28, v24, v28
	v_add3_u32 v23, v0, v33, v23
	v_alignbit_b32 v0, v7, v7, 19
	v_lshrrev_b32_e32 v33, 10, v7
	v_alignbit_b32 v36, v29, v29, 7
	v_alignbit_b32 v38, v28, v28, 6
	;; [unrolled: 1-line block ×4, first 2 shown]
	v_bitop3_b32 v41, v28, v25, v26 bitop3:0xac
	v_alignbit_b32 v37, v23, v23, 2
	v_alignbit_b32 v42, v23, v23, 13
	;; [unrolled: 1-line block ×3, first 2 shown]
	v_xor3_b32 v38, v39, v38, v40
	v_add3_u32 v6, v18, v6, v41
	v_xor_b32_e32 v44, v30, v23
	v_alignbit_b32 v39, v29, v29, 18
	v_xor3_b32 v37, v42, v37, v43
	v_xor3_b32 v31, v31, v32, v34
	v_add3_u32 v38, v6, v38, 0xe49b69c1
	v_bfi_b32 v41, v44, v27, v23
	v_xor3_b32 v0, v0, v35, v33
	v_alignbit_b32 v6, v7, v7, 7
	v_add3_u32 v31, v19, v1, v31
	v_add_nc_u32_e32 v27, v38, v27
	v_add3_u32 v24, v37, v41, v24
	v_xor_b32_e32 v32, v39, v36
	v_alignbit_b32 v42, v7, v7, 18
	v_lshrrev_b32_e32 v43, 3, v7
	v_alignbit_b32 v34, v27, v27, 6
	v_alignbit_b32 v35, v27, v27, 11
	;; [unrolled: 1-line block ×3, first 2 shown]
	v_bitop3_b32 v37, v27, v26, v28 bitop3:0xac
	v_alignbit_b32 v33, v24, v24, 2
	v_alignbit_b32 v39, v24, v24, 13
	;; [unrolled: 1-line block ×3, first 2 shown]
	v_xor3_b32 v34, v35, v34, v36
	v_add3_u32 v25, v13, v25, v37
	v_xor_b32_e32 v35, v42, v6
	v_add3_u32 v19, v21, v2, v0
	v_xor_b32_e32 v44, v23, v24
	v_xor3_b32 v1, v39, v33, v41
	v_add3_u32 v25, v25, v34, 0xefbe4786
	v_xad_u32 v0, v35, v43, v29
	v_lshrrev_b32_e32 v40, 3, v29
	v_bfi_b32 v33, v44, v30, v24
	s_delay_alu instid0(VALU_DEP_4) | instskip(SKIP_1) | instid1(VALU_DEP_4)
	v_add_nc_u32_e32 v21, v25, v30
	v_alignbit_b32 v30, v31, v31, 19
	v_xad_u32 v6, v32, v40, v13
	s_delay_alu instid0(VALU_DEP_4)
	v_add3_u32 v2, v1, v33, v38
	v_alignbit_b32 v1, v31, v31, 17
	v_alignbit_b32 v34, v21, v21, 6
	;; [unrolled: 1-line block ×4, first 2 shown]
	v_bitop3_b32 v37, v21, v28, v27 bitop3:0xac
	v_xor_b32_e32 v40, v24, v2
	v_alignbit_b32 v33, v2, v2, 2
	v_alignbit_b32 v38, v2, v2, 13
	v_xor3_b32 v34, v35, v34, v36
	v_add3_u32 v26, v29, v26, v37
	v_alignbit_b32 v39, v2, v2, 22
	v_bfi_b32 v37, v40, v23, v2
	v_lshrrev_b32_e32 v32, 10, v31
	v_alignbit_b32 v35, v19, v19, 17
	v_add3_u32 v26, v26, v34, 0xfc19dc6
	v_xor3_b32 v33, v38, v33, v39
	v_alignbit_b32 v36, v19, v19, 19
	v_lshrrev_b32_e32 v34, 10, v19
	v_alignbit_b32 v38, v31, v31, 7
	v_add_nc_u32_e32 v23, v26, v23
	v_add3_u32 v25, v33, v37, v25
	v_alignbit_b32 v39, v31, v31, 18
	v_lshrrev_b32_e32 v33, 3, v31
	v_xor3_b32 v1, v30, v1, v32
	v_alignbit_b32 v42, v23, v23, 6
	v_alignbit_b32 v43, v23, v23, 11
	v_alignbit_b32 v44, v23, v23, 25
	v_bitop3_b32 v45, v23, v27, v21 bitop3:0xac
	v_alignbit_b32 v41, v25, v25, 2
	v_alignbit_b32 v46, v25, v25, 13
	;; [unrolled: 1-line block ×3, first 2 shown]
	v_xor3_b32 v42, v43, v42, v44
	v_add3_u32 v28, v7, v28, v45
	v_xor_b32_e32 v48, v2, v25
	v_xor3_b32 v34, v36, v35, v34
	v_xor3_b32 v30, v46, v41, v47
	v_xor_b32_e32 v35, v39, v38
	v_add3_u32 v28, v28, v42, 0x240ca1cc
	v_bfi_b32 v32, v48, v24, v25
	v_alignbit_b32 v37, v19, v19, 7
	v_alignbit_b32 v40, v19, v19, 18
	s_delay_alu instid0(VALU_DEP_4) | instskip(NEXT) | instid1(VALU_DEP_4)
	v_dual_lshrrev_b32 v43, 3, v19 :: v_dual_add_nc_u32 v24, v28, v24
	v_add3_u32 v26, v30, v32, v26
	v_add3_u32 v30, v14, v3, v1
	;; [unrolled: 1-line block ×3, first 2 shown]
	v_xad_u32 v3, v35, v33, v7
	v_alignbit_b32 v1, v24, v24, 6
	v_alignbit_b32 v18, v24, v24, 11
	;; [unrolled: 1-line block ×3, first 2 shown]
	v_bitop3_b32 v33, v24, v21, v23 bitop3:0xac
	v_xor_b32_e32 v36, v40, v37
	v_alignbit_b32 v15, v26, v26, 2
	v_alignbit_b32 v34, v26, v26, 13
	;; [unrolled: 1-line block ×3, first 2 shown]
	v_xor_b32_e32 v37, v25, v26
	v_xor3_b32 v18, v18, v1, v32
	v_add3_u32 v27, v31, v27, v33
	v_xad_u32 v1, v36, v43, v31
	v_xor3_b32 v15, v34, v15, v35
	v_bfi_b32 v33, v37, v2, v26
	v_alignbit_b32 v32, v30, v30, 17
	v_add3_u32 v18, v27, v18, 0x2de92c6f
	v_alignbit_b32 v27, v30, v30, 19
	v_lshrrev_b32_e32 v34, 10, v30
	v_add3_u32 v15, v15, v33, v28
	v_alignbit_b32 v35, v14, v14, 17
	v_add_nc_u32_e32 v28, v18, v2
	v_alignbit_b32 v2, v14, v14, 19
	v_lshrrev_b32_e32 v33, 10, v14
	v_alignbit_b32 v37, v15, v15, 2
	v_alignbit_b32 v42, v15, v15, 13
	;; [unrolled: 1-line block ×5, first 2 shown]
	v_bitop3_b32 v41, v28, v23, v24 bitop3:0xac
	v_alignbit_b32 v43, v15, v15, 22
	v_xor_b32_e32 v44, v26, v15
	v_alignbit_b32 v36, v30, v30, 7
	v_xor3_b32 v38, v39, v38, v40
	v_add3_u32 v21, v19, v21, v41
	v_xor3_b32 v37, v42, v37, v43
	v_bfi_b32 v41, v44, v25, v15
	v_alignbit_b32 v39, v30, v30, 18
	v_xor3_b32 v2, v2, v35, v33
	v_add3_u32 v21, v21, v38, 0x4a7484aa
	v_lshrrev_b32_e32 v40, 3, v30
	v_add3_u32 v18, v37, v41, v18
	v_alignbit_b32 v38, v14, v14, 7
	v_alignbit_b32 v42, v14, v14, 18
	v_add_nc_u32_e32 v37, v21, v25
	v_xor3_b32 v25, v27, v32, v34
	v_alignbit_b32 v32, v18, v18, 2
	v_alignbit_b32 v41, v18, v18, 22
	v_lshrrev_b32_e32 v43, 3, v14
	v_alignbit_b32 v33, v37, v37, 6
	v_alignbit_b32 v34, v37, v37, 11
	v_alignbit_b32 v35, v37, v37, 25
	s_delay_alu instid0(VALU_DEP_1)
	v_xor3_b32 v33, v34, v33, v35
	v_add3_u32 v35, v12, v13, v25
	v_xor_b32_e32 v27, v39, v36
	v_bitop3_b32 v36, v37, v24, v28 bitop3:0xac
	v_alignbit_b32 v39, v18, v18, 13
	v_xor_b32_e32 v44, v15, v18
	v_add3_u32 v25, v11, v29, v2
	v_xad_u32 v11, v27, v40, v19
	v_add3_u32 v23, v30, v23, v36
	v_xor3_b32 v12, v39, v32, v41
	v_lshrrev_b32_e32 v27, 10, v35
	v_bfi_b32 v13, v44, v26, v18
	v_xor_b32_e32 v34, v42, v38
	v_add3_u32 v23, v23, v33, 0x5cb0a9dc
	s_delay_alu instid0(VALU_DEP_3) | instskip(NEXT) | instid1(VALU_DEP_3)
	v_add3_u32 v13, v12, v13, v21
	v_xad_u32 v2, v34, v43, v30
	s_delay_alu instid0(VALU_DEP_3)
	v_add_nc_u32_e32 v21, v23, v26
	v_alignbit_b32 v12, v35, v35, 17
	v_alignbit_b32 v26, v35, v35, 19
	;; [unrolled: 1-line block ×7, first 2 shown]
	v_bitop3_b32 v36, v21, v28, v37 bitop3:0xac
	v_alignbit_b32 v39, v13, v13, 22
	v_xor_b32_e32 v40, v18, v13
	v_xor3_b32 v12, v26, v12, v27
	v_xor3_b32 v32, v33, v32, v34
	v_add3_u32 v24, v14, v24, v36
	v_xor3_b32 v29, v38, v29, v39
	v_bfi_b32 v36, v40, v15, v13
	v_alignbit_b32 v33, v25, v25, 17
	v_alignbit_b32 v34, v25, v25, 19
	v_add3_u32 v24, v24, v32, 0x76f988da
	v_lshrrev_b32_e32 v32, 10, v25
	v_add3_u32 v23, v29, v36, v23
	v_alignbit_b32 v38, v35, v35, 7
	v_alignbit_b32 v39, v35, v35, 18
	v_add_nc_u32_e32 v29, v24, v15
	v_alignbit_b32 v15, v25, v25, 7
	v_alignbit_b32 v41, v23, v23, 2
	v_alignbit_b32 v46, v23, v23, 13
	v_alignbit_b32 v47, v23, v23, 22
	v_alignbit_b32 v42, v29, v29, 6
	v_alignbit_b32 v43, v29, v29, 11
	v_alignbit_b32 v44, v29, v29, 25
	v_bitop3_b32 v45, v29, v37, v21 bitop3:0xac
	v_xor_b32_e32 v48, v13, v23
	v_xor3_b32 v26, v46, v41, v47
	v_alignbit_b32 v40, v25, v25, 18
	v_xor3_b32 v42, v43, v42, v44
	v_add3_u32 v28, v35, v28, v45
	v_bfi_b32 v27, v48, v18, v23
	v_xor3_b32 v32, v34, v33, v32
	v_lshrrev_b32_e32 v36, 3, v35
	v_xor_b32_e32 v34, v40, v15
	v_add3_u32 v28, v28, v42, 0x983e5152
	v_add3_u32 v24, v26, v27, v24
	;; [unrolled: 1-line block ×4, first 2 shown]
	v_xor_b32_e32 v33, v39, v38
	v_add_nc_u32_e32 v26, v28, v18
	v_alignbit_b32 v10, v24, v24, 2
	v_alignbit_b32 v32, v24, v24, 13
	v_lshrrev_b32_e32 v43, 3, v25
	v_xad_u32 v9, v33, v36, v14
	v_alignbit_b32 v7, v26, v26, 6
	v_alignbit_b32 v18, v26, v26, 11
	;; [unrolled: 1-line block ×3, first 2 shown]
	v_bitop3_b32 v31, v26, v21, v29 bitop3:0xac
	v_alignbit_b32 v33, v24, v24, 22
	v_xor_b32_e32 v36, v23, v24
	s_delay_alu instid0(VALU_DEP_4) | instskip(NEXT) | instid1(VALU_DEP_4)
	v_xor3_b32 v18, v18, v7, v27
	v_add3_u32 v27, v25, v37, v31
	s_delay_alu instid0(VALU_DEP_4) | instskip(NEXT) | instid1(VALU_DEP_4)
	v_xor3_b32 v10, v32, v10, v33
	v_bfi_b32 v32, v36, v13, v24
	v_lshrrev_b32_e32 v33, 10, v15
	v_xad_u32 v7, v34, v43, v35
	v_add3_u32 v18, v27, v18, 0xa831c66d
	v_alignbit_b32 v31, v15, v15, 17
	v_add3_u32 v10, v10, v32, v28
	v_alignbit_b32 v27, v15, v15, 19
	v_alignbit_b32 v34, v12, v12, 17
	v_add_nc_u32_e32 v28, v18, v13
	v_alignbit_b32 v13, v12, v12, 19
	v_alignbit_b32 v37, v10, v10, 2
	;; [unrolled: 1-line block ×7, first 2 shown]
	v_bitop3_b32 v41, v28, v29, v26 bitop3:0xac
	v_xor_b32_e32 v44, v24, v10
	v_xor3_b32 v37, v42, v37, v43
	v_lshrrev_b32_e32 v43, 3, v12
	v_xor3_b32 v38, v39, v38, v40
	v_add3_u32 v21, v15, v21, v41
	v_bfi_b32 v41, v44, v23, v10
	v_lshrrev_b32_e32 v32, 10, v12
	v_alignbit_b32 v36, v15, v15, 7
	v_alignbit_b32 v39, v15, v15, 18
	v_add3_u32 v21, v21, v38, 0xb00327c8
	v_add3_u32 v37, v37, v41, v18
	v_xor3_b32 v18, v27, v31, v33
	v_xor3_b32 v13, v13, v34, v32
	v_alignbit_b32 v38, v12, v12, 7
	v_dual_add_nc_u32 v41, v21, v23 :: v_dual_bitop2_b32 v23, v39, v36 bitop3:0x14
	v_alignbit_b32 v27, v37, v37, 2
	v_alignbit_b32 v36, v37, v37, 13
	;; [unrolled: 1-line block ×3, first 2 shown]
	s_delay_alu instid0(VALU_DEP_4)
	v_alignbit_b32 v31, v41, v41, 6
	v_alignbit_b32 v32, v41, v41, 11
	;; [unrolled: 1-line block ×3, first 2 shown]
	v_bitop3_b32 v34, v41, v26, v28 bitop3:0xac
	v_alignbit_b32 v42, v12, v12, 18
	v_add3_u32 v18, v8, v19, v18
	v_xor3_b32 v19, v36, v27, v39
	v_xor3_b32 v31, v32, v31, v33
	v_add3_u32 v29, v12, v29, v34
	v_add3_u32 v13, v5, v30, v13
	v_dual_lshrrev_b32 v40, 3, v15 :: v_dual_bitop2_b32 v32, v42, v38 bitop3:0x14
	s_delay_alu instid0(VALU_DEP_3) | instskip(SKIP_1) | instid1(VALU_DEP_3)
	v_add3_u32 v29, v29, v31, 0xbf597fc7
	v_xor_b32_e32 v44, v10, v37
	v_xad_u32 v5, v32, v43, v15
	s_delay_alu instid0(VALU_DEP_4) | instskip(NEXT) | instid1(VALU_DEP_3)
	v_xad_u32 v8, v23, v40, v25
	v_bfi_b32 v27, v44, v24, v37
	s_delay_alu instid0(VALU_DEP_1) | instskip(SKIP_3) | instid1(VALU_DEP_4)
	v_add3_u32 v21, v19, v27, v21
	v_dual_add_nc_u32 v27, v29, v24 :: v_dual_lshrrev_b32 v30, 10, v18
	v_alignbit_b32 v19, v18, v18, 17
	v_alignbit_b32 v24, v18, v18, 19
	;; [unrolled: 1-line block ×3, first 2 shown]
	s_delay_alu instid0(VALU_DEP_4)
	v_alignbit_b32 v31, v27, v27, 6
	v_alignbit_b32 v32, v27, v27, 11
	;; [unrolled: 1-line block ×3, first 2 shown]
	v_bitop3_b32 v34, v27, v28, v41 bitop3:0xac
	v_alignbit_b32 v36, v21, v21, 13
	v_alignbit_b32 v38, v21, v21, 22
	v_xor_b32_e32 v39, v37, v21
	v_xor3_b32 v31, v32, v31, v33
	v_add3_u32 v26, v18, v26, v34
	v_alignbit_b32 v32, v13, v13, 17
	v_xor3_b32 v23, v36, v23, v38
	v_bfi_b32 v34, v39, v10, v21
	v_alignbit_b32 v33, v13, v13, 19
	v_add3_u32 v26, v26, v31, 0xc6e00bf3
	v_lshrrev_b32_e32 v31, 10, v13
	v_alignbit_b32 v36, v18, v18, 7
	v_add3_u32 v29, v23, v34, v29
	v_alignbit_b32 v38, v18, v18, 18
	v_add_nc_u32_e32 v23, v26, v10
	v_xor3_b32 v19, v24, v19, v30
	s_delay_alu instid0(VALU_DEP_4) | instskip(SKIP_1) | instid1(VALU_DEP_4)
	v_dual_lshrrev_b32 v10, 3, v18 :: v_dual_bitop2_b32 v48, v21, v29 bitop3:0x14
	v_alignbit_b32 v40, v29, v29, 2
	v_alignbit_b32 v42, v23, v23, 6
	;; [unrolled: 1-line block ×4, first 2 shown]
	v_bitop3_b32 v45, v23, v41, v27 bitop3:0xac
	v_alignbit_b32 v46, v29, v29, 13
	v_alignbit_b32 v47, v29, v29, 22
	v_bfi_b32 v30, v48, v37, v29
	v_xor3_b32 v42, v43, v42, v44
	v_add3_u32 v28, v13, v28, v45
	v_xor3_b32 v31, v33, v32, v31
	v_xor3_b32 v24, v46, v40, v47
	v_lshrrev_b32_e32 v43, 3, v13
	v_add3_u32 v19, v4, v14, v19
	v_add3_u32 v28, v28, v42, 0xd5a79147
	v_xor_b32_e32 v32, v38, v36
	v_add3_u32 v30, v24, v30, v26
	v_add3_u32 v14, v22, v35, v31
	v_alignbit_b32 v34, v13, v13, 7
	v_add_nc_u32_e32 v24, v28, v37
	v_xad_u32 v10, v32, v10, v12
	v_alignbit_b32 v39, v13, v13, 18
	v_alignbit_b32 v22, v30, v30, 2
	;; [unrolled: 1-line block ×6, first 2 shown]
	v_bitop3_b32 v32, v24, v27, v23 bitop3:0xac
	v_xor_b32_e32 v33, v39, v34
	v_alignbit_b32 v34, v30, v30, 13
	v_alignbit_b32 v37, v19, v19, 7
	v_xor3_b32 v26, v26, v4, v31
	v_add3_u32 v31, v19, v41, v32
	v_alignbit_b32 v32, v19, v19, 17
	v_xor3_b32 v22, v34, v22, v35
	v_alignbit_b32 v34, v19, v19, 19
	v_lshrrev_b32_e32 v35, 10, v19
	v_add3_u32 v31, v31, v26, 0x6ca6351
	v_xor_b32_e32 v36, v29, v30
	v_xad_u32 v4, v33, v43, v18
	s_delay_alu instid0(VALU_DEP_4) | instskip(NEXT) | instid1(VALU_DEP_3)
	v_xor3_b32 v32, v34, v32, v35
	v_bfi_b32 v33, v36, v21, v30
	v_add_nc_u32_e32 v21, v31, v21
	v_alignbit_b32 v36, v14, v14, 17
	s_delay_alu instid0(VALU_DEP_4) | instskip(NEXT) | instid1(VALU_DEP_4)
	v_add3_u32 v20, v20, v25, v32
	v_add3_u32 v26, v22, v33, v28
	s_delay_alu instid0(VALU_DEP_4)
	v_alignbit_b32 v38, v21, v21, 6
	v_alignbit_b32 v39, v21, v21, 11
	;; [unrolled: 1-line block ×3, first 2 shown]
	v_bitop3_b32 v41, v21, v23, v24 bitop3:0xac
	v_alignbit_b32 v22, v26, v26, 2
	v_alignbit_b32 v42, v26, v26, 13
	;; [unrolled: 1-line block ×3, first 2 shown]
	v_xor_b32_e32 v44, v30, v26
	v_xor3_b32 v38, v39, v38, v40
	v_add3_u32 v27, v14, v27, v41
	v_alignbit_b32 v28, v14, v14, 19
	v_xor3_b32 v22, v42, v22, v43
	v_bfi_b32 v41, v44, v29, v26
	v_dual_lshrrev_b32 v33, 10, v14 :: v_dual_lshrrev_b32 v40, 3, v19
	v_add3_u32 v38, v27, v38, 0x14292967
	v_alignbit_b32 v42, v14, v14, 7
	s_delay_alu instid0(VALU_DEP_4) | instskip(NEXT) | instid1(VALU_DEP_4)
	v_add3_u32 v27, v22, v41, v31
	v_xor3_b32 v28, v28, v36, v33
	v_alignbit_b32 v43, v14, v14, 18
	v_dual_add_nc_u32 v22, v38, v29 :: v_dual_lshrrev_b32 v29, 3, v14
	s_delay_alu instid0(VALU_DEP_4) | instskip(SKIP_2) | instid1(VALU_DEP_4)
	v_alignbit_b32 v25, v27, v27, 2
	v_alignbit_b32 v35, v27, v27, 13
	;; [unrolled: 1-line block ×6, first 2 shown]
	v_bitop3_b32 v34, v22, v24, v21 bitop3:0xac
	v_alignbit_b32 v39, v19, v19, 18
	v_xor3_b32 v25, v35, v25, v36
	v_add3_u32 v28, v6, v15, v28
	v_xor3_b32 v31, v32, v31, v33
	v_add3_u32 v23, v20, v23, v34
	v_xor_b32_e32 v33, v43, v42
	v_xor_b32_e32 v32, v39, v37
	s_delay_alu instid0(VALU_DEP_3) | instskip(SKIP_1) | instid1(VALU_DEP_4)
	v_add3_u32 v23, v23, v31, 0x27b70a85
	v_xor_b32_e32 v41, v26, v27
	v_xad_u32 v6, v33, v29, v19
	v_alignbit_b32 v31, v20, v20, 19
	s_delay_alu instid0(VALU_DEP_4) | instskip(NEXT) | instid1(VALU_DEP_4)
	v_add_nc_u32_e32 v29, v23, v30
	v_bfi_b32 v34, v41, v30, v27
	v_alignbit_b32 v30, v20, v20, 17
	s_delay_alu instid0(VALU_DEP_3) | instskip(NEXT) | instid1(VALU_DEP_3)
	v_alignbit_b32 v35, v29, v29, 11
	v_add3_u32 v25, v25, v34, v38
	v_alignbit_b32 v34, v29, v29, 6
	v_alignbit_b32 v36, v29, v29, 25
	v_bitop3_b32 v37, v29, v21, v22 bitop3:0xac
	s_delay_alu instid0(VALU_DEP_4) | instskip(SKIP_1) | instid1(VALU_DEP_4)
	v_alignbit_b32 v33, v25, v25, 2
	v_alignbit_b32 v38, v25, v25, 13
	v_xor3_b32 v34, v35, v34, v36
	s_delay_alu instid0(VALU_DEP_4) | instskip(SKIP_3) | instid1(VALU_DEP_4)
	v_add3_u32 v24, v28, v24, v37
	v_alignbit_b32 v39, v25, v25, 22
	v_alignbit_b32 v35, v28, v28, 17
	;; [unrolled: 1-line block ×3, first 2 shown]
	v_add3_u32 v24, v24, v34, 0x2e1b2138
	v_lshrrev_b32_e32 v34, 10, v28
	v_xad_u32 v15, v32, v40, v13
	v_dual_lshrrev_b32 v32, 10, v20 :: v_dual_bitop2_b32 v40, v27, v25 bitop3:0x14
	v_xor3_b32 v33, v38, v33, v39
	v_alignbit_b32 v38, v20, v20, 7
	v_xor3_b32 v34, v36, v35, v34
	s_delay_alu instid0(VALU_DEP_4)
	v_xor3_b32 v30, v31, v30, v32
	v_bfi_b32 v37, v40, v26, v25
	v_add_nc_u32_e32 v26, v24, v26
	v_alignbit_b32 v31, v20, v20, 18
	v_add3_u32 v34, v3, v18, v34
	v_add3_u32 v30, v0, v12, v30
	;; [unrolled: 1-line block ×3, first 2 shown]
	v_alignbit_b32 v12, v26, v26, 6
	v_alignbit_b32 v33, v26, v26, 11
	;; [unrolled: 1-line block ×3, first 2 shown]
	v_bitop3_b32 v39, v26, v22, v29 bitop3:0xac
	v_xor_b32_e32 v42, v25, v23
	v_alignbit_b32 v0, v23, v23, 2
	v_alignbit_b32 v40, v23, v23, 13
	v_xor3_b32 v12, v33, v12, v37
	v_add3_u32 v21, v30, v21, v39
	v_alignbit_b32 v41, v23, v23, 22
	v_alignbit_b32 v33, v28, v28, 7
	;; [unrolled: 1-line block ×4, first 2 shown]
	v_add3_u32 v12, v21, v12, 0x4d2c6dfc
	v_lshrrev_b32_e32 v21, 3, v28
	v_bfi_b32 v39, v42, v27, v23
	v_xor_b32_e32 v31, v31, v38
	v_xor3_b32 v0, v40, v0, v41
	v_dual_add_nc_u32 v27, v12, v27 :: v_dual_bitop2_b32 v33, v37, v33 bitop3:0x14
	v_lshrrev_b32_e32 v32, 3, v20
	s_delay_alu instid0(VALU_DEP_3) | instskip(NEXT) | instid1(VALU_DEP_3)
	v_add3_u32 v24, v0, v39, v24
	v_alignbit_b32 v3, v27, v27, 6
	v_alignbit_b32 v35, v27, v27, 11
	;; [unrolled: 1-line block ×3, first 2 shown]
	v_bitop3_b32 v37, v27, v29, v26 bitop3:0xac
	v_alignbit_b32 v0, v24, v24, 2
	v_alignbit_b32 v38, v24, v24, 13
	v_alignbit_b32 v39, v24, v24, 22
	v_xor3_b32 v3, v35, v3, v36
	v_add3_u32 v22, v34, v22, v37
	v_alignbit_b32 v35, v30, v30, 19
	v_lshrrev_b32_e32 v36, 10, v30
	v_xor3_b32 v37, v38, v0, v39
	v_xad_u32 v0, v31, v32, v14
	v_add3_u32 v22, v22, v3, 0x53380d13
	v_xor_b32_e32 v40, v23, v24
	v_xor3_b32 v18, v35, v18, v36
	v_xad_u32 v3, v33, v21, v20
	v_alignbit_b32 v31, v34, v34, 19
	s_delay_alu instid0(VALU_DEP_4) | instskip(SKIP_2) | instid1(VALU_DEP_3)
	v_bfi_b32 v38, v40, v25, v24
	v_add_nc_u32_e32 v25, v22, v25
	v_add3_u32 v32, v1, v13, v18
	v_add3_u32 v21, v37, v38, v12
	s_delay_alu instid0(VALU_DEP_3)
	v_alignbit_b32 v13, v25, v25, 6
	v_alignbit_b32 v18, v25, v25, 11
	;; [unrolled: 1-line block ×3, first 2 shown]
	v_bitop3_b32 v35, v25, v26, v27 bitop3:0xac
	v_alignbit_b32 v12, v34, v34, 17
	v_alignbit_b32 v1, v21, v21, 2
	;; [unrolled: 1-line block ×3, first 2 shown]
	v_xor3_b32 v13, v18, v13, v33
	v_add3_u32 v18, v32, v29, v35
	v_alignbit_b32 v37, v21, v21, 22
	v_dual_lshrrev_b32 v29, 10, v34 :: v_dual_bitop2_b32 v38, v24, v21 bitop3:0x14
	v_alignbit_b32 v33, v30, v30, 7
	s_delay_alu instid0(VALU_DEP_4) | instskip(NEXT) | instid1(VALU_DEP_4)
	v_add3_u32 v13, v18, v13, 0x650a7354
	v_xor3_b32 v1, v36, v1, v37
	s_delay_alu instid0(VALU_DEP_4) | instskip(SKIP_1) | instid1(VALU_DEP_4)
	v_bfi_b32 v35, v38, v23, v21
	v_xor3_b32 v12, v31, v12, v29
	v_dual_lshrrev_b32 v29, 3, v30 :: v_dual_add_nc_u32 v23, v13, v23
	v_alignbit_b32 v18, v30, v30, 18
	s_delay_alu instid0(VALU_DEP_4) | instskip(NEXT) | instid1(VALU_DEP_4)
	v_add3_u32 v22, v1, v35, v22
	v_add3_u32 v1, v11, v19, v12
	v_alignbit_b32 v11, v32, v32, 17
	v_alignbit_b32 v19, v23, v23, 6
	v_alignbit_b32 v35, v23, v23, 11
	v_alignbit_b32 v36, v23, v23, 25
	v_bitop3_b32 v37, v23, v27, v25 bitop3:0xac
	v_alignbit_b32 v12, v22, v22, 2
	v_alignbit_b32 v38, v22, v22, 13
	;; [unrolled: 1-line block ×3, first 2 shown]
	v_xor3_b32 v19, v35, v19, v36
	v_add3_u32 v26, v1, v26, v37
	v_dual_lshrrev_b32 v36, 10, v32 :: v_dual_bitop2_b32 v40, v21, v22 bitop3:0x14
	v_alignbit_b32 v35, v32, v32, 19
	v_xor3_b32 v12, v38, v12, v39
	s_delay_alu instid0(VALU_DEP_4) | instskip(NEXT) | instid1(VALU_DEP_4)
	v_add3_u32 v19, v26, v19, 0x766a0abb
	v_bfi_b32 v37, v40, v24, v22
	v_lshrrev_b32_e32 v38, 3, v34
	v_xor3_b32 v11, v35, v11, v36
	v_alignbit_b32 v31, v34, v34, 7
	v_add_nc_u32_e32 v24, v19, v24
	v_add3_u32 v13, v12, v37, v13
	v_xor_b32_e32 v12, v18, v33
	v_add3_u32 v33, v2, v14, v11
	v_alignbit_b32 v26, v34, v34, 18
	v_alignbit_b32 v11, v24, v24, 6
	;; [unrolled: 1-line block ×4, first 2 shown]
	v_bitop3_b32 v36, v24, v25, v23 bitop3:0xac
	v_alignbit_b32 v2, v13, v13, 2
	v_alignbit_b32 v37, v13, v13, 13
	;; [unrolled: 1-line block ×3, first 2 shown]
	v_xor_b32_e32 v40, v22, v13
	v_xor3_b32 v11, v14, v11, v35
	v_add3_u32 v14, v33, v27, v36
	v_alignbit_b32 v18, v1, v1, 17
	v_xor3_b32 v2, v37, v2, v39
	v_bfi_b32 v36, v40, v21, v13
	v_alignbit_b32 v27, v1, v1, 19
	v_add3_u32 v14, v14, v11, 0x81c2c92e
	v_dual_lshrrev_b32 v35, 10, v1 :: v_dual_bitop2_b32 v11, v26, v31 bitop3:0x14
	s_delay_alu instid0(VALU_DEP_4) | instskip(NEXT) | instid1(VALU_DEP_3)
	v_add3_u32 v2, v2, v36, v19
	v_add_nc_u32_e32 v19, v14, v21
	s_delay_alu instid0(VALU_DEP_3) | instskip(NEXT) | instid1(VALU_DEP_4)
	v_xor3_b32 v18, v27, v18, v35
	v_xad_u32 v11, v11, v38, v30
	s_delay_alu instid0(VALU_DEP_4)
	v_xor_b32_e32 v36, v13, v2
	v_alignbit_b32 v31, v2, v2, 13
	v_alignbit_b32 v21, v19, v19, 6
	;; [unrolled: 1-line block ×4, first 2 shown]
	v_add3_u32 v9, v9, v20, v18
	v_alignbit_b32 v18, v33, v33, 17
	v_alignbit_b32 v20, v2, v2, 2
	;; [unrolled: 1-line block ×3, first 2 shown]
	v_xor3_b32 v21, v26, v21, v27
	v_lshrrev_b32_e32 v27, 10, v33
	v_xad_u32 v12, v12, v29, v28
	v_bitop3_b32 v29, v19, v23, v24 bitop3:0xac
	v_alignbit_b32 v26, v33, v33, 19
	v_xor3_b32 v20, v31, v20, v35
	v_alignbit_b32 v31, v32, v32, 18
	s_delay_alu instid0(VALU_DEP_4) | instskip(SKIP_3) | instid1(VALU_DEP_4)
	v_add3_u32 v25, v9, v25, v29
	v_bfi_b32 v29, v36, v22, v2
	v_xor3_b32 v18, v26, v18, v27
	v_alignbit_b32 v26, v9, v9, 17
	v_add3_u32 v21, v25, v21, 0x92722c85
	s_delay_alu instid0(VALU_DEP_4) | instskip(NEXT) | instid1(VALU_DEP_4)
	v_add3_u32 v20, v20, v29, v14
	v_add3_u32 v18, v7, v28, v18
	v_lshrrev_b32_e32 v14, 3, v32
	v_alignbit_b32 v25, v32, v32, 7
	v_add_nc_u32_e32 v22, v21, v22
	v_alignbit_b32 v7, v20, v20, 2
	v_alignbit_b32 v36, v20, v20, 13
	v_alignbit_b32 v37, v20, v20, 22
	s_delay_alu instid0(VALU_DEP_4) | instskip(SKIP_4) | instid1(VALU_DEP_3)
	v_alignbit_b32 v27, v22, v22, 6
	v_alignbit_b32 v28, v22, v22, 11
	;; [unrolled: 1-line block ×3, first 2 shown]
	v_bitop3_b32 v35, v22, v24, v19 bitop3:0xac
	v_xor3_b32 v7, v36, v7, v37
	v_xor3_b32 v27, v28, v27, v29
	s_delay_alu instid0(VALU_DEP_3) | instskip(SKIP_2) | instid1(VALU_DEP_3)
	v_add3_u32 v23, v18, v23, v35
	v_alignbit_b32 v28, v9, v9, 19
	v_lshrrev_b32_e32 v29, 10, v9
	v_add3_u32 v23, v23, v27, 0xa2bfe8a1
	v_xor_b32_e32 v38, v2, v20
	s_delay_alu instid0(VALU_DEP_3) | instskip(SKIP_4) | instid1(VALU_DEP_3)
	v_xor3_b32 v26, v28, v26, v29
	v_alignbit_b32 v27, v1, v1, 7
	v_alignbit_b32 v28, v1, v1, 18
	v_add_nc_u32_e32 v29, v23, v13
	v_bfi_b32 v35, v38, v13, v20
	v_dual_lshrrev_b32 v13, 3, v1 :: v_dual_bitop2_b32 v27, v28, v27 bitop3:0x14
	s_delay_alu instid0(VALU_DEP_3) | instskip(NEXT) | instid1(VALU_DEP_3)
	v_alignbit_b32 v36, v29, v29, 25
	v_add3_u32 v21, v7, v35, v21
	v_add3_u32 v7, v8, v30, v26
	v_alignbit_b32 v30, v29, v29, 6
	v_alignbit_b32 v35, v29, v29, 11
	v_bitop3_b32 v37, v29, v19, v22 bitop3:0xac
	v_alignbit_b32 v26, v21, v21, 2
	v_alignbit_b32 v38, v21, v21, 13
	;; [unrolled: 1-line block ×3, first 2 shown]
	v_xor_b32_e32 v40, v20, v21
	v_xor3_b32 v30, v35, v30, v36
	v_add3_u32 v24, v7, v24, v37
	v_alignbit_b32 v8, v18, v18, 17
	v_alignbit_b32 v35, v18, v18, 19
	v_lshrrev_b32_e32 v36, 10, v18
	v_xor3_b32 v26, v38, v26, v39
	v_bfi_b32 v37, v40, v2, v21
	v_add3_u32 v24, v24, v30, 0xa81a664b
	v_xor_b32_e32 v25, v31, v25
	v_xor3_b32 v8, v35, v8, v36
	s_delay_alu instid0(VALU_DEP_4) | instskip(NEXT) | instid1(VALU_DEP_4)
	v_add3_u32 v23, v26, v37, v23
	v_add_nc_u32_e32 v26, v24, v2
	s_delay_alu instid0(VALU_DEP_4) | instskip(NEXT) | instid1(VALU_DEP_4)
	v_xad_u32 v14, v25, v14, v34
	v_add3_u32 v8, v5, v34, v8
	v_alignbit_b32 v2, v7, v7, 17
	v_alignbit_b32 v5, v23, v23, 2
	;; [unrolled: 1-line block ×5, first 2 shown]
	v_bitop3_b32 v31, v26, v22, v29 bitop3:0xac
	v_alignbit_b32 v34, v23, v23, 13
	v_alignbit_b32 v35, v23, v23, 22
	v_xor_b32_e32 v36, v21, v23
	v_xor3_b32 v25, v28, v25, v30
	v_add3_u32 v19, v8, v19, v31
	v_alignbit_b32 v28, v7, v7, 19
	v_lshrrev_b32_e32 v30, 10, v7
	v_xor3_b32 v5, v34, v5, v35
	v_bfi_b32 v31, v36, v20, v23
	v_add3_u32 v19, v19, v25, 0xc24b8b70
	v_alignbit_b32 v25, v33, v33, 7
	v_xor3_b32 v2, v28, v2, v30
	s_delay_alu instid0(VALU_DEP_4) | instskip(NEXT) | instid1(VALU_DEP_4)
	v_add3_u32 v24, v5, v31, v24
	v_add_nc_u32_e32 v20, v19, v20
	v_xad_u32 v13, v27, v13, v32
	s_delay_alu instid0(VALU_DEP_4)
	v_add3_u32 v5, v10, v32, v2
	v_alignbit_b32 v2, v8, v8, 17
	v_alignbit_b32 v10, v24, v24, 2
	;; [unrolled: 1-line block ×5, first 2 shown]
	v_bitop3_b32 v32, v20, v29, v26 bitop3:0xac
	v_alignbit_b32 v34, v24, v24, 13
	v_alignbit_b32 v35, v24, v24, 22
	v_xor_b32_e32 v36, v23, v24
	v_xor3_b32 v28, v30, v28, v31
	v_add3_u32 v22, v5, v22, v32
	v_alignbit_b32 v30, v8, v8, 19
	v_lshrrev_b32_e32 v31, 10, v8
	v_xor3_b32 v10, v34, v10, v35
	v_alignbit_b32 v34, v9, v9, 7
	v_add3_u32 v22, v22, v28, 0xc76c51a3
	v_lshrrev_b32_e32 v28, 3, v33
	v_bfi_b32 v32, v36, v21, v24
	v_xor3_b32 v2, v30, v2, v31
	v_alignbit_b32 v30, v5, v5, 17
	v_alignbit_b32 v27, v33, v33, 18
	s_delay_alu instid0(VALU_DEP_4)
	v_add3_u32 v10, v10, v32, v19
	v_add_nc_u32_e32 v19, v22, v21
	v_add3_u32 v4, v4, v1, v2
	v_alignbit_b32 v21, v9, v9, 18
	v_xor_b32_e32 v25, v27, v25
	v_xor_b32_e32 v39, v24, v10
	v_alignbit_b32 v31, v19, v19, 6
	v_alignbit_b32 v32, v19, v19, 11
	;; [unrolled: 1-line block ×3, first 2 shown]
	v_bitop3_b32 v36, v19, v26, v20 bitop3:0xac
	v_alignbit_b32 v2, v10, v10, 2
	v_alignbit_b32 v37, v10, v10, 13
	;; [unrolled: 1-line block ×3, first 2 shown]
	v_xor3_b32 v31, v32, v31, v35
	v_add3_u32 v29, v4, v29, v36
	v_alignbit_b32 v32, v5, v5, 19
	v_bfi_b32 v36, v39, v23, v10
	v_xor3_b32 v2, v37, v2, v38
	v_xor_b32_e32 v21, v21, v34
	v_add3_u32 v29, v29, v31, 0xd192e819
	v_lshrrev_b32_e32 v35, 10, v5
	v_lshrrev_b32_e32 v31, 3, v9
	v_add3_u32 v22, v2, v36, v22
	s_delay_alu instid0(VALU_DEP_4) | instskip(NEXT) | instid1(VALU_DEP_4)
	v_add_nc_u32_e32 v23, v29, v23
	v_xor3_b32 v30, v32, v30, v35
	s_delay_alu instid0(VALU_DEP_4) | instskip(NEXT) | instid1(VALU_DEP_4)
	v_xad_u32 v21, v21, v31, v33
	v_alignbit_b32 v27, v22, v22, 2
	v_alignbit_b32 v36, v22, v22, 13
	;; [unrolled: 1-line block ×3, first 2 shown]
	v_add3_u32 v2, v15, v33, v30
	v_alignbit_b32 v30, v23, v23, 6
	v_alignbit_b32 v34, v23, v23, 25
	;; [unrolled: 1-line block ×3, first 2 shown]
	v_bitop3_b32 v35, v23, v20, v19 bitop3:0xac
	v_alignbit_b32 v37, v22, v22, 22
	s_delay_alu instid0(VALU_DEP_4)
	v_xor3_b32 v30, v32, v30, v34
	v_alignbit_b32 v32, v4, v4, 19
	v_lshrrev_b32_e32 v34, 10, v4
	v_add3_u32 v26, v2, v26, v35
	v_xad_u32 v25, v25, v28, v1
	v_xor3_b32 v27, v36, v27, v37
	v_alignbit_b32 v28, v2, v2, 17
	v_xor3_b32 v1, v32, v15, v34
	v_add3_u32 v26, v26, v30, 0xd6990624
	s_delay_alu instid0(VALU_DEP_2) | instskip(SKIP_1) | instid1(VALU_DEP_1)
	v_add3_u32 v1, v6, v9, v1
	v_xor_b32_e32 v38, v10, v22
	v_bfi_b32 v35, v38, v24, v22
	s_delay_alu instid0(VALU_DEP_4) | instskip(NEXT) | instid1(VALU_DEP_2)
	v_add_nc_u32_e32 v24, v26, v24
	v_add3_u32 v15, v27, v35, v29
	s_delay_alu instid0(VALU_DEP_2)
	v_alignbit_b32 v29, v24, v24, 6
	v_alignbit_b32 v30, v24, v24, 11
	;; [unrolled: 1-line block ×7, first 2 shown]
	v_xor_b32_e32 v35, v22, v15
	v_xor3_b32 v29, v30, v29, v31
	v_alignbit_b32 v30, v2, v2, 19
	v_lshrrev_b32_e32 v31, 10, v2
	v_bitop3_b32 v32, v24, v19, v23 bitop3:0xac
	v_xor3_b32 v6, v33, v6, v34
	s_delay_alu instid0(VALU_DEP_3) | instskip(NEXT) | instid1(VALU_DEP_3)
	v_xor3_b32 v28, v30, v28, v31
	v_add3_u32 v20, v1, v20, v32
	v_lshrrev_b32_e32 v30, 3, v18
	v_bfi_b32 v32, v35, v10, v15
	s_delay_alu instid0(VALU_DEP_4) | instskip(NEXT) | instid1(VALU_DEP_4)
	v_add3_u32 v0, v0, v18, v28
	v_add3_u32 v20, v20, v29, 0xf40e3585
	v_alignbit_b32 v28, v1, v1, 17
	s_delay_alu instid0(VALU_DEP_4) | instskip(SKIP_3) | instid1(VALU_DEP_4)
	v_add3_u32 v6, v6, v32, v26
	v_alignbit_b32 v29, v18, v18, 18
	v_alignbit_b32 v26, v7, v7, 7
	v_add_nc_u32_e32 v10, v20, v10
	v_alignbit_b32 v31, v6, v6, 2
	v_alignbit_b32 v36, v6, v6, 13
	;; [unrolled: 1-line block ×3, first 2 shown]
	v_xor_b32_e32 v38, v15, v6
	v_xor_b32_e32 v27, v29, v27
	v_alignbit_b32 v29, v0, v0, 17
	s_delay_alu instid0(VALU_DEP_4)
	v_xor3_b32 v31, v36, v31, v37
	v_lshrrev_b32_e32 v36, 3, v7
	v_alignbit_b32 v32, v10, v10, 6
	v_alignbit_b32 v33, v10, v10, 11
	;; [unrolled: 1-line block ×3, first 2 shown]
	v_bitop3_b32 v35, v10, v23, v24 bitop3:0xac
	v_xad_u32 v9, v27, v30, v9
	s_delay_alu instid0(VALU_DEP_3) | instskip(NEXT) | instid1(VALU_DEP_3)
	v_xor3_b32 v32, v33, v32, v34
	v_add3_u32 v19, v0, v19, v35
	v_alignbit_b32 v33, v1, v1, 19
	v_lshrrev_b32_e32 v34, 10, v1
	v_bfi_b32 v35, v38, v22, v6
	s_delay_alu instid0(VALU_DEP_4) | instskip(SKIP_1) | instid1(VALU_DEP_4)
	v_add3_u32 v19, v19, v32, 0x106aa070
	v_alignbit_b32 v32, v7, v7, 18
	v_xor3_b32 v28, v33, v28, v34
	s_delay_alu instid0(VALU_DEP_4) | instskip(NEXT) | instid1(VALU_DEP_4)
	v_add3_u32 v20, v31, v35, v20
	v_add_nc_u32_e32 v22, v19, v22
	s_delay_alu instid0(VALU_DEP_3) | instskip(NEXT) | instid1(VALU_DEP_3)
	v_add3_u32 v3, v3, v7, v28
	v_alignbit_b32 v28, v20, v20, 2
	v_alignbit_b32 v37, v20, v20, 13
	s_delay_alu instid0(VALU_DEP_4)
	v_alignbit_b32 v31, v22, v22, 6
	v_alignbit_b32 v33, v22, v22, 11
	;; [unrolled: 1-line block ×3, first 2 shown]
	v_bitop3_b32 v35, v22, v24, v10 bitop3:0xac
	v_alignbit_b32 v38, v20, v20, 22
	v_xor_b32_e32 v26, v32, v26
	s_delay_alu instid0(VALU_DEP_4) | instskip(NEXT) | instid1(VALU_DEP_4)
	v_xor3_b32 v31, v33, v31, v34
	v_add3_u32 v23, v3, v23, v35
	v_alignbit_b32 v33, v0, v0, 19
	v_lshrrev_b32_e32 v34, 10, v0
	v_xor3_b32 v28, v37, v28, v38
	s_delay_alu instid0(VALU_DEP_4) | instskip(SKIP_1) | instid1(VALU_DEP_4)
	v_add3_u32 v23, v23, v31, 0x19a4c116
	v_xor_b32_e32 v39, v6, v20
	v_xor3_b32 v29, v33, v29, v34
	s_delay_alu instid0(VALU_DEP_2) | instskip(NEXT) | instid1(VALU_DEP_4)
	v_bfi_b32 v35, v39, v15, v20
	v_add_nc_u32_e32 v15, v23, v15
	s_delay_alu instid0(VALU_DEP_3) | instskip(NEXT) | instid1(VALU_DEP_3)
	v_add3_u32 v12, v12, v8, v29
	v_add3_u32 v19, v28, v35, v19
	s_delay_alu instid0(VALU_DEP_3)
	v_alignbit_b32 v28, v15, v15, 6
	v_alignbit_b32 v29, v15, v15, 11
	;; [unrolled: 1-line block ×3, first 2 shown]
	v_bitop3_b32 v31, v15, v10, v22 bitop3:0xac
	v_alignbit_b32 v27, v19, v19, 2
	v_alignbit_b32 v32, v19, v19, 13
	;; [unrolled: 1-line block ×3, first 2 shown]
	v_xor_b32_e32 v34, v20, v19
	v_xor3_b32 v28, v29, v28, v30
	v_add3_u32 v24, v12, v24, v31
	v_alignbit_b32 v29, v3, v3, 19
	v_lshrrev_b32_e32 v30, 10, v3
	v_xad_u32 v18, v26, v36, v18
	v_alignbit_b32 v26, v3, v3, 17
	v_xor3_b32 v27, v32, v27, v33
	v_bfi_b32 v31, v34, v6, v19
	v_add3_u32 v24, v24, v28, 0x1e376c08
	v_alignbit_b32 v28, v8, v8, 7
	v_xor3_b32 v26, v29, v26, v30
	v_alignbit_b32 v29, v12, v12, 17
	v_add3_u32 v23, v27, v31, v23
	v_add_nc_u32_e32 v6, v24, v6
	v_alignbit_b32 v32, v8, v8, 18
	v_add3_u32 v11, v11, v5, v26
	s_delay_alu instid0(VALU_DEP_4) | instskip(NEXT) | instid1(VALU_DEP_4)
	v_dual_lshrrev_b32 v27, 3, v8 :: v_dual_bitop2_b32 v37, v19, v23 bitop3:0x14
	v_alignbit_b32 v30, v6, v6, 6
	v_alignbit_b32 v31, v6, v6, 11
	;; [unrolled: 1-line block ×3, first 2 shown]
	v_bitop3_b32 v34, v6, v22, v15 bitop3:0xac
	v_alignbit_b32 v26, v23, v23, 2
	v_alignbit_b32 v35, v23, v23, 13
	;; [unrolled: 1-line block ×3, first 2 shown]
	v_xor3_b32 v30, v31, v30, v33
	v_add3_u32 v10, v11, v10, v34
	v_alignbit_b32 v31, v12, v12, 19
	v_lshrrev_b32_e32 v33, 10, v12
	v_xor3_b32 v26, v35, v26, v36
	v_bfi_b32 v34, v37, v20, v23
	v_add3_u32 v10, v10, v30, 0x2748774c
	v_alignbit_b32 v30, v5, v5, 7
	s_delay_alu instid0(VALU_DEP_3) | instskip(NEXT) | instid1(VALU_DEP_3)
	v_add3_u32 v24, v26, v34, v24
	v_dual_add_nc_u32 v20, v10, v20 :: v_dual_lshrrev_b32 v26, 3, v5
	v_xor3_b32 v29, v31, v29, v33
	v_alignbit_b32 v31, v5, v5, 18
	s_delay_alu instid0(VALU_DEP_4) | instskip(NEXT) | instid1(VALU_DEP_4)
	v_alignbit_b32 v33, v24, v24, 2
	v_alignbit_b32 v34, v20, v20, 6
	;; [unrolled: 1-line block ×4, first 2 shown]
	v_add3_u32 v14, v14, v4, v29
	v_alignbit_b32 v29, v11, v11, 17
	v_alignbit_b32 v38, v24, v24, 13
	;; [unrolled: 1-line block ×3, first 2 shown]
	v_xor3_b32 v34, v35, v34, v36
	v_lshrrev_b32_e32 v36, 10, v11
	v_bitop3_b32 v37, v20, v15, v6 bitop3:0xac
	v_alignbit_b32 v35, v11, v11, 19
	v_xor3_b32 v33, v38, v33, v39
	v_xor_b32_e32 v28, v32, v28
	s_delay_alu instid0(VALU_DEP_4) | instskip(NEXT) | instid1(VALU_DEP_4)
	v_add3_u32 v22, v14, v22, v37
	v_xor3_b32 v29, v35, v29, v36
	s_delay_alu instid0(VALU_DEP_2) | instskip(SKIP_1) | instid1(VALU_DEP_3)
	v_add3_u32 v22, v22, v34, 0x34b0bcb5
	v_xor_b32_e32 v40, v23, v24
	v_add3_u32 v13, v13, v2, v29
	v_xor_b32_e32 v30, v31, v30
	s_delay_alu instid0(VALU_DEP_3) | instskip(SKIP_1) | instid1(VALU_DEP_3)
	v_bfi_b32 v37, v40, v19, v24
	v_add_nc_u32_e32 v19, v22, v19
	v_xad_u32 v8, v30, v26, v8
	s_delay_alu instid0(VALU_DEP_3) | instskip(NEXT) | instid1(VALU_DEP_3)
	v_add3_u32 v10, v33, v37, v10
	v_alignbit_b32 v29, v19, v19, 6
	v_alignbit_b32 v31, v19, v19, 11
	v_alignbit_b32 v32, v19, v19, 25
	v_bitop3_b32 v33, v19, v6, v20 bitop3:0xac
	v_alignbit_b32 v34, v10, v10, 13
	v_alignbit_b32 v35, v10, v10, 22
	s_delay_alu instid0(VALU_DEP_4) | instskip(NEXT) | instid1(VALU_DEP_4)
	v_xor3_b32 v29, v31, v29, v32
	v_add3_u32 v15, v13, v15, v33
	v_alignbit_b32 v31, v14, v14, 19
	v_lshrrev_b32_e32 v32, 10, v14
	v_xad_u32 v7, v28, v27, v7
	v_alignbit_b32 v27, v14, v14, 17
	v_alignbit_b32 v28, v10, v10, 2
	v_add3_u32 v15, v15, v29, 0x391c0cb3
	v_xor_b32_e32 v36, v24, v10
	s_delay_alu instid0(VALU_DEP_4) | instskip(NEXT) | instid1(VALU_DEP_4)
	v_xor3_b32 v26, v31, v27, v32
	v_xor3_b32 v28, v34, v28, v35
	v_alignbit_b32 v27, v4, v4, 7
	s_delay_alu instid0(VALU_DEP_4) | instskip(SKIP_3) | instid1(VALU_DEP_4)
	v_bfi_b32 v33, v36, v23, v10
	v_add_nc_u32_e32 v23, v15, v23
	v_add3_u32 v25, v25, v1, v26
	v_alignbit_b32 v26, v13, v13, 17
	v_add3_u32 v22, v28, v33, v22
	s_delay_alu instid0(VALU_DEP_4)
	v_alignbit_b32 v30, v23, v23, 6
	v_alignbit_b32 v31, v23, v23, 11
	;; [unrolled: 1-line block ×3, first 2 shown]
	v_bitop3_b32 v33, v23, v20, v19 bitop3:0xac
	v_alignbit_b32 v29, v22, v22, 2
	v_alignbit_b32 v34, v22, v22, 13
	;; [unrolled: 1-line block ×3, first 2 shown]
	v_xor3_b32 v30, v31, v30, v32
	v_add3_u32 v6, v25, v6, v33
	v_xor_b32_e32 v36, v10, v22
	v_alignbit_b32 v31, v13, v13, 19
	v_lshrrev_b32_e32 v32, 10, v13
	v_xor3_b32 v29, v34, v29, v35
	v_add3_u32 v6, v6, v30, 0x4ed8aa4a
	v_lshrrev_b32_e32 v30, 3, v4
	v_bfi_b32 v33, v36, v24, v22
	v_xor3_b32 v26, v31, v26, v32
	v_alignbit_b32 v31, v25, v25, 17
	v_add_nc_u32_e32 v24, v6, v24
	v_alignbit_b32 v34, v2, v2, 7
	v_add3_u32 v15, v29, v33, v15
	v_add3_u32 v21, v21, v0, v26
	v_alignbit_b32 v29, v2, v2, 18
	v_alignbit_b32 v32, v24, v24, 6
	;; [unrolled: 1-line block ×7, first 2 shown]
	v_xor_b32_e32 v39, v22, v15
	v_xor3_b32 v32, v33, v32, v35
	v_lshrrev_b32_e32 v35, 10, v25
	v_bitop3_b32 v36, v24, v19, v23 bitop3:0xac
	v_alignbit_b32 v33, v25, v25, 19
	v_xor3_b32 v26, v37, v26, v38
	v_alignbit_b32 v28, v4, v4, 18
	s_delay_alu instid0(VALU_DEP_4) | instskip(NEXT) | instid1(VALU_DEP_4)
	v_add3_u32 v20, v21, v20, v36
	v_xor3_b32 v31, v33, v31, v35
	s_delay_alu instid0(VALU_DEP_3) | instskip(SKIP_1) | instid1(VALU_DEP_4)
	v_xor_b32_e32 v27, v28, v27
	v_alignbit_b32 v28, v21, v21, 17
	v_add3_u32 v20, v20, v32, 0x5b9cca4f
	v_lshrrev_b32_e32 v32, 3, v2
	v_bfi_b32 v36, v39, v10, v15
	v_add3_u32 v9, v9, v3, v31
	s_delay_alu instid0(VALU_DEP_2) | instskip(SKIP_2) | instid1(VALU_DEP_3)
	v_add3_u32 v6, v26, v36, v6
	v_add_nc_u32_e32 v10, v20, v10
	v_xor_b32_e32 v26, v29, v34
	v_alignbit_b32 v29, v6, v6, 2
	s_delay_alu instid0(VALU_DEP_3)
	v_alignbit_b32 v31, v10, v10, 6
	v_alignbit_b32 v33, v10, v10, 11
	;; [unrolled: 1-line block ×3, first 2 shown]
	v_bitop3_b32 v35, v10, v23, v24 bitop3:0xac
	v_alignbit_b32 v36, v6, v6, 13
	v_alignbit_b32 v37, v6, v6, 22
	v_xor_b32_e32 v38, v15, v6
	v_xor3_b32 v31, v33, v31, v34
	v_add3_u32 v19, v9, v19, v35
	v_alignbit_b32 v33, v21, v21, 19
	v_lshrrev_b32_e32 v34, 10, v21
	v_xor3_b32 v29, v36, v29, v37
	v_bfi_b32 v35, v38, v22, v6
	v_add3_u32 v19, v19, v31, 0x682e6ff3
	v_xad_u32 v4, v26, v32, v4
	v_xor3_b32 v26, v33, v28, v34
	v_xad_u32 v5, v27, v30, v5
	v_add3_u32 v20, v29, v35, v20
	v_alignbit_b32 v27, v9, v9, 17
	v_alignbit_b32 v28, v9, v9, 19
	v_add3_u32 v12, v18, v12, v26
	s_delay_alu instid0(VALU_DEP_4) | instskip(SKIP_3) | instid1(VALU_DEP_4)
	v_dual_add_nc_u32 v22, v19, v22 :: v_dual_bitop2_b32 v34, v6, v20 bitop3:0x14
	v_alignbit_b32 v18, v20, v20, 2
	v_alignbit_b32 v32, v20, v20, 13
	;; [unrolled: 1-line block ×6, first 2 shown]
	v_bitop3_b32 v31, v22, v24, v10 bitop3:0xac
	v_xor3_b32 v18, v32, v18, v33
	s_delay_alu instid0(VALU_DEP_3) | instskip(NEXT) | instid1(VALU_DEP_3)
	v_xor3_b32 v26, v29, v26, v30
	v_add3_u32 v23, v12, v23, v31
	v_bfi_b32 v31, v34, v15, v20
	v_lshrrev_b32_e32 v29, 10, v9
	v_alignbit_b32 v30, v1, v1, 7
	s_delay_alu instid0(VALU_DEP_4) | instskip(NEXT) | instid1(VALU_DEP_4)
	v_add3_u32 v23, v23, v26, 0x748f82ee
	v_add3_u32 v18, v18, v31, v19
	s_delay_alu instid0(VALU_DEP_4) | instskip(SKIP_2) | instid1(VALU_DEP_4)
	v_xor3_b32 v26, v28, v27, v29
	v_alignbit_b32 v19, v12, v12, 19
	v_alignbit_b32 v27, v1, v1, 18
	v_dual_add_nc_u32 v15, v23, v15 :: v_dual_bitop2_b32 v36, v20, v18 bitop3:0x14
	s_delay_alu instid0(VALU_DEP_4) | instskip(SKIP_2) | instid1(VALU_DEP_4)
	v_add3_u32 v7, v7, v11, v26
	v_alignbit_b32 v26, v18, v18, 2
	v_alignbit_b32 v34, v18, v18, 13
	;; [unrolled: 1-line block ×7, first 2 shown]
	v_lshrrev_b32_e32 v28, 3, v1
	s_delay_alu instid0(VALU_DEP_4) | instskip(SKIP_4) | instid1(VALU_DEP_4)
	v_xor3_b32 v29, v31, v29, v32
	v_lshrrev_b32_e32 v31, 10, v12
	v_bitop3_b32 v33, v15, v10, v22 bitop3:0xac
	v_xor3_b32 v26, v34, v26, v35
	v_bfi_b32 v32, v36, v6, v18
	v_xor3_b32 v11, v19, v11, v31
	s_delay_alu instid0(VALU_DEP_4) | instskip(SKIP_1) | instid1(VALU_DEP_4)
	v_add3_u32 v24, v7, v24, v33
	v_alignbit_b32 v33, v0, v0, 7
	v_add3_u32 v19, v26, v32, v23
	v_alignbit_b32 v23, v7, v7, 17
	v_add3_u32 v8, v8, v14, v11
	v_add3_u32 v24, v24, v29, 0x78a5636f
	v_alignbit_b32 v26, v7, v7, 19
	v_xor_b32_e32 v37, v18, v19
	v_alignbit_b32 v11, v19, v19, 2
	v_alignbit_b32 v14, v19, v19, 13
	v_add_nc_u32_e32 v6, v24, v6
	v_alignbit_b32 v36, v19, v19, 22
	v_lshrrev_b32_e32 v7, 10, v7
	v_alignbit_b32 v29, v0, v0, 18
	s_delay_alu instid0(VALU_DEP_4)
	v_alignbit_b32 v31, v6, v6, 6
	v_alignbit_b32 v32, v6, v6, 11
	;; [unrolled: 1-line block ×3, first 2 shown]
	v_bitop3_b32 v35, v6, v22, v15 bitop3:0xac
	v_xor3_b32 v11, v14, v11, v36
	v_bfi_b32 v14, v37, v20, v19
	v_xor3_b32 v7, v26, v23, v7
	v_xor3_b32 v31, v32, v31, v34
	v_add3_u32 v10, v8, v10, v35
	v_lshrrev_b32_e32 v23, 3, v0
	v_add3_u32 v11, v11, v14, v24
	v_add3_u32 v5, v5, v13, v7
	v_alignbit_b32 v7, v8, v8, 17
	v_add3_u32 v10, v10, v31, 0x84c87814
	v_xor_b32_e32 v26, v27, v30
	v_alignbit_b32 v24, v11, v11, 13
	v_alignbit_b32 v27, v11, v11, 22
	;; [unrolled: 1-line block ×3, first 2 shown]
	v_add_nc_u32_e32 v13, v10, v20
	v_alignbit_b32 v20, v11, v11, 2
	v_dual_lshrrev_b32 v8, 10, v8 :: v_dual_bitop2_b32 v35, v19, v11 bitop3:0x14
	v_xad_u32 v2, v26, v28, v2
	s_delay_alu instid0(VALU_DEP_4)
	v_alignbit_b32 v30, v13, v13, 6
	v_alignbit_b32 v31, v13, v13, 11
	;; [unrolled: 1-line block ×3, first 2 shown]
	v_bitop3_b32 v34, v13, v15, v6 bitop3:0xac
	v_xor3_b32 v20, v24, v20, v27
	v_bfi_b32 v27, v35, v18, v11
	v_xor3_b32 v7, v14, v7, v8
	v_xor3_b32 v24, v31, v30, v32
	v_add3_u32 v22, v5, v22, v34
	v_alignbit_b32 v14, v5, v5, 17
	v_add3_u32 v10, v20, v27, v10
	v_add3_u32 v4, v4, v25, v7
	s_delay_alu instid0(VALU_DEP_4) | instskip(SKIP_1) | instid1(VALU_DEP_4)
	v_add3_u32 v8, v22, v24, 0x8cc70208
	v_xor_b32_e32 v29, v29, v33
	v_alignbit_b32 v20, v10, v10, 13
	v_alignbit_b32 v22, v10, v10, 22
	s_delay_alu instid0(VALU_DEP_4) | instskip(NEXT) | instid1(VALU_DEP_4)
	v_add_nc_u32_e32 v7, v8, v18
	v_xad_u32 v1, v29, v23, v1
	v_alignbit_b32 v18, v10, v10, 2
	v_xor_b32_e32 v23, v11, v10
	s_delay_alu instid0(VALU_DEP_4)
	v_alignbit_b32 v24, v7, v7, 6
	v_alignbit_b32 v25, v7, v7, 11
	;; [unrolled: 1-line block ×3, first 2 shown]
	v_bitop3_b32 v27, v7, v6, v13 bitop3:0xac
	v_xor3_b32 v18, v20, v18, v22
	v_alignbit_b32 v22, v5, v5, 19
	v_lshrrev_b32_e32 v5, 10, v5
	v_bfi_b32 v20, v23, v19, v10
	v_xor3_b32 v23, v25, v24, v26
	v_add3_u32 v15, v4, v15, v27
	v_alignbit_b32 v25, v4, v4, 19
	v_xor3_b32 v5, v22, v14, v5
	v_add3_u32 v8, v18, v20, v8
	v_alignbit_b32 v18, v3, v3, 7
	v_add3_u32 v15, v15, v23, 0x90befffa
	v_alignbit_b32 v20, v3, v3, 18
	;; [unrolled: 2-line block ×3, first 2 shown]
	v_alignbit_b32 v22, v8, v8, 13
	v_alignbit_b32 v23, v8, v8, 22
	v_dual_add_nc_u32 v26, v15, v19 :: v_dual_bitop2_b32 v19, v10, v8 bitop3:0x14
	v_alignbit_b32 v5, v4, v4, 17
	v_dual_lshrrev_b32 v4, 10, v4 :: v_dual_lshrrev_b32 v3, 3, v3
	s_delay_alu instid0(VALU_DEP_4) | instskip(NEXT) | instid1(VALU_DEP_4)
	v_xor3_b32 v14, v22, v14, v23
	v_alignbit_b32 v21, v26, v26, 6
	v_alignbit_b32 v22, v26, v26, 11
	;; [unrolled: 1-line block ×3, first 2 shown]
	v_bitop3_b32 v24, v26, v13, v7 bitop3:0xac
	v_bfi_b32 v19, v19, v11, v8
	v_xor3_b32 v4, v25, v5, v4
	s_delay_alu instid0(VALU_DEP_4) | instskip(NEXT) | instid1(VALU_DEP_4)
	v_xor3_b32 v21, v22, v21, v23
	v_add3_u32 v6, v2, v6, v24
	s_delay_alu instid0(VALU_DEP_4) | instskip(NEXT) | instid1(VALU_DEP_4)
	v_add3_u32 v14, v14, v19, v15
	v_add3_u32 v1, v1, v9, v4
	v_add_nc_u32_e32 v22, 0x5be0cd19, v26
	s_delay_alu instid0(VALU_DEP_4)
	v_add3_u32 v5, v6, v21, 0xa4506ceb
	v_xor_b32_e32 v15, v20, v18
	v_alignbit_b32 v6, v14, v14, 2
	v_alignbit_b32 v18, v14, v14, 13
	;; [unrolled: 1-line block ×3, first 2 shown]
	v_dual_add_nc_u32 v27, v5, v11 :: v_dual_bitop2_b32 v20, v8, v14 bitop3:0x14
	v_alignbit_b32 v11, v2, v2, 17
	v_xad_u32 v0, v15, v3, v0
	s_delay_alu instid0(VALU_DEP_4) | instskip(NEXT) | instid1(VALU_DEP_4)
	v_xor3_b32 v4, v18, v6, v19
	v_bfi_b32 v6, v20, v10, v14
	v_alignbit_b32 v9, v27, v27, 6
	v_alignbit_b32 v18, v27, v27, 11
	;; [unrolled: 1-line block ×3, first 2 shown]
	v_bitop3_b32 v20, v27, v7, v26 bitop3:0xac
	v_add3_u32 v4, v4, v6, v5
	v_alignbit_b32 v5, v2, v2, 19
	v_lshrrev_b32_e32 v2, 10, v2
	v_xor3_b32 v6, v18, v9, v19
	v_add3_u32 v1, v1, v13, v20
	v_alignbit_b32 v9, v4, v4, 2
	v_alignbit_b32 v13, v4, v4, 13
	;; [unrolled: 1-line block ×3, first 2 shown]
	v_xor_b32_e32 v19, v14, v4
	v_add3_u32 v1, v1, v6, 0xbef9a3f7
	v_xor3_b32 v2, v5, v11, v2
	v_add_nc_u32_e32 v20, 0xa54ff53a, v14
	v_xor3_b32 v3, v13, v9, v18
	v_bfi_b32 v5, v19, v8, v4
	v_add_nc_u32_e32 v28, v1, v10
	v_add3_u32 v0, v0, v12, v2
	v_add_nc_u32_e32 v21, 0x3c6ef372, v4
	v_add_nc_u32_e32 v23, 0x1f83d9ab, v27
	v_add3_u32 v1, v3, v5, v1
	s_delay_alu instid0(VALU_DEP_1)
	v_alignbit_b32 v9, v1, v1, 2
	v_alignbit_b32 v10, v1, v1, 13
	v_xor_b32_e32 v11, v4, v1
	v_alignbit_b32 v2, v28, v28, 6
	v_alignbit_b32 v3, v28, v28, 11
	;; [unrolled: 1-line block ×3, first 2 shown]
	v_bitop3_b32 v6, v28, v26, v27 bitop3:0xac
	v_alignbit_b32 v12, v1, v1, 22
	v_add_nc_u32_e32 v24, 0xbb67ae85, v1
	v_add_nc_u32_e32 v18, 0x9b05688c, v28
	v_xor3_b32 v2, v3, v2, v5
	v_add3_u32 v0, v0, v7, v6
	v_xor_b32_e32 v3, v10, v9
	v_bfi_b32 v5, v11, v14, v1
	s_delay_alu instid0(VALU_DEP_3) | instskip(NEXT) | instid1(VALU_DEP_2)
	v_add3_u32 v0, v0, v2, 0xc67178f2
	v_xad_u32 v2, v3, v12, v5
	s_delay_alu instid0(VALU_DEP_2) | instskip(NEXT) | instid1(VALU_DEP_2)
	v_add3_u32 v19, v8, v0, 0x510e527f
	v_add3_u32 v25, v2, v0, 0x6a09e667
	s_and_saveexec_b32 s2, vcc_lo
	s_cbranch_execz .LBB0_3
; %bb.2:
	s_clause 0x3
	global_load_b128 v[12:15], v[16:17], off offset:64
	global_load_b128 v[0:3], v[16:17], off offset:112
	;; [unrolled: 1-line block ×4, first 2 shown]
	s_wait_xcnt 0x0
	v_alignbit_b32 v16, v19, v19, 6
	v_alignbit_b32 v17, v19, v19, 11
	;; [unrolled: 1-line block ×3, first 2 shown]
	v_bitop3_b32 v30, v19, v23, v18 bitop3:0xac
	v_alignbit_b32 v32, v25, v25, 13
	v_alignbit_b32 v33, v25, v25, 22
	v_xor_b32_e32 v35, v24, v25
	v_xor3_b32 v16, v17, v16, v29
	v_alignbit_b32 v17, v25, v25, 2
	s_delay_alu instid0(VALU_DEP_2) | instskip(NEXT) | instid1(VALU_DEP_2)
	v_add3_u32 v16, v26, v30, v16
	v_xor3_b32 v17, v32, v17, v33
	s_wait_loadcnt 0x3
	s_delay_alu instid0(VALU_DEP_2) | instskip(SKIP_3) | instid1(VALU_DEP_3)
	v_add3_u32 v16, v16, v12, 0x9e6afcb1
	v_alignbit_b32 v46, v15, v15, 18
	s_wait_loadcnt 0x1
	v_alignbit_b32 v47, v8, v8, 7
	v_add_nc_u32_e32 v34, v16, v20
	s_delay_alu instid0(VALU_DEP_1) | instskip(SKIP_3) | instid1(VALU_DEP_2)
	v_alignbit_b32 v26, v34, v34, 6
	v_alignbit_b32 v29, v34, v34, 11
	;; [unrolled: 1-line block ×3, first 2 shown]
	v_bitop3_b32 v31, v34, v18, v19 bitop3:0xac
	v_xor3_b32 v26, v29, v26, v30
	s_delay_alu instid0(VALU_DEP_2) | instskip(SKIP_1) | instid1(VALU_DEP_2)
	v_add3_u32 v27, v27, v13, v31
	v_bfi_b32 v29, v35, v21, v25
	v_add3_u32 v26, v27, v26, 0x90bb1e3c
	s_delay_alu instid0(VALU_DEP_2) | instskip(NEXT) | instid1(VALU_DEP_2)
	v_add3_u32 v35, v17, v29, v16
	v_add_nc_u32_e32 v36, v26, v21
	s_delay_alu instid0(VALU_DEP_2)
	v_alignbit_b32 v16, v35, v35, 2
	v_alignbit_b32 v31, v35, v35, 13
	;; [unrolled: 1-line block ×3, first 2 shown]
	v_xor_b32_e32 v33, v25, v35
	v_alignbit_b32 v17, v36, v36, 6
	v_alignbit_b32 v27, v36, v36, 11
	;; [unrolled: 1-line block ×3, first 2 shown]
	v_bitop3_b32 v30, v36, v19, v34 bitop3:0xac
	s_delay_alu instid0(VALU_DEP_2) | instskip(NEXT) | instid1(VALU_DEP_2)
	v_xor3_b32 v29, v27, v17, v29
	v_add3_u32 v28, v28, v14, v30
	v_xor3_b32 v30, v31, v16, v32
	v_lshrrev_b32_e32 v16, 3, v13
	v_bfi_b32 v31, v33, v24, v35
	v_alignbit_b32 v17, v13, v13, 7
	v_add3_u32 v32, v28, v29, 0x50c6645b
	v_alignbit_b32 v27, v13, v13, 18
	v_alignbit_b32 v28, v2, v2, 17
	v_add3_u32 v37, v30, v31, v26
	v_alignbit_b32 v29, v2, v2, 19
	v_dual_add_nc_u32 v38, v32, v24 :: v_dual_lshrrev_b32 v31, 10, v2
	v_alignbit_b32 v30, v14, v14, 7
	s_delay_alu instid0(VALU_DEP_4) | instskip(SKIP_1) | instid1(VALU_DEP_4)
	v_xor_b32_e32 v45, v35, v37
	v_alignbit_b32 v39, v37, v37, 2
	v_alignbit_b32 v26, v38, v38, 6
	;; [unrolled: 1-line block ×4, first 2 shown]
	v_bitop3_b32 v42, v38, v34, v36 bitop3:0xac
	v_alignbit_b32 v43, v37, v37, 13
	v_alignbit_b32 v44, v37, v37, 22
	;; [unrolled: 1-line block ×3, first 2 shown]
	v_xor3_b32 v40, v40, v26, v41
	v_add3_u32 v41, v19, v15, v42
	v_lshrrev_b32_e32 v26, 3, v14
	v_xor3_b32 v39, v43, v39, v44
	v_bfi_b32 v43, v45, v25, v37
	v_alignbit_b32 v42, v3, v3, 17
	v_add3_u32 v40, v41, v40, 0xe9b5dba5
	v_alignbit_b32 v41, v3, v3, 19
	v_lshrrev_b32_e32 v44, 10, v3
	v_add3_u32 v39, v39, v43, v32
	s_delay_alu instid0(VALU_DEP_4) | instskip(SKIP_1) | instid1(VALU_DEP_4)
	v_dual_lshrrev_b32 v32, 3, v15 :: v_dual_add_nc_u32 v43, v40, v25
	v_alignbit_b32 v45, v15, v15, 7
	v_xor3_b32 v41, v41, v42, v44
	s_delay_alu instid0(VALU_DEP_4)
	v_alignbit_b32 v48, v39, v39, 2
	v_alignbit_b32 v53, v39, v39, 13
	;; [unrolled: 1-line block ×5, first 2 shown]
	v_bitop3_b32 v52, v43, v36, v38 bitop3:0xac
	v_alignbit_b32 v54, v39, v39, 22
	v_xor_b32_e32 v55, v37, v39
	v_xor3_b32 v31, v29, v28, v31
	v_xor3_b32 v49, v50, v49, v51
	v_add3_u32 v34, v34, v8, v52
	v_lshrrev_b32_e32 v51, 3, v8
	v_xor3_b32 v48, v53, v48, v54
	v_bfi_b32 v52, v55, v35, v39
	v_alignbit_b32 v50, v8, v8, 18
	v_add3_u32 v34, v34, v49, 0x3956c25b
	v_lshrrev_b32_e32 v54, 3, v9
	v_alignbit_b32 v49, v9, v9, 7
	v_add3_u32 v40, v48, v52, v40
	s_delay_alu instid0(VALU_DEP_4) | instskip(SKIP_2) | instid1(VALU_DEP_4)
	v_dual_lshrrev_b32 v55, 3, v10 :: v_dual_add_nc_u32 v35, v34, v35
	v_alignbit_b32 v53, v9, v9, 18
	v_alignbit_b32 v48, v10, v10, 7
	v_xor_b32_e32 v63, v39, v40
	v_alignbit_b32 v56, v40, v40, 2
	v_alignbit_b32 v57, v35, v35, 6
	;; [unrolled: 1-line block ×4, first 2 shown]
	v_bitop3_b32 v60, v35, v38, v43 bitop3:0xac
	v_alignbit_b32 v61, v40, v40, 13
	v_alignbit_b32 v62, v40, v40, 22
	;; [unrolled: 1-line block ×3, first 2 shown]
	v_xor3_b32 v57, v58, v57, v59
	v_add3_u32 v36, v9, v36, v60
	v_bfi_b32 v60, v63, v37, v40
	v_xor3_b32 v56, v61, v56, v62
	v_alignbit_b32 v58, v11, v11, 7
	v_alignbit_b32 v59, v11, v11, 18
	v_add3_u32 v36, v36, v57, 0x59f111f1
	v_lshrrev_b32_e32 v57, 3, v11
	v_add3_u32 v34, v56, v60, v34
	s_wait_loadcnt 0x0
	v_lshrrev_b32_e32 v56, 3, v4
	v_alignbit_b32 v60, v5, v5, 7
	v_add_nc_u32_e32 v37, v36, v37
	v_alignbit_b32 v63, v5, v5, 18
	v_xor_b32_e32 v71, v40, v34
	v_alignbit_b32 v64, v34, v34, 2
	v_alignbit_b32 v69, v34, v34, 13
	;; [unrolled: 1-line block ×5, first 2 shown]
	v_bitop3_b32 v68, v37, v43, v35 bitop3:0xac
	v_alignbit_b32 v70, v34, v34, 22
	v_alignbit_b32 v61, v4, v4, 7
	v_alignbit_b32 v62, v4, v4, 18
	v_xor3_b32 v65, v66, v65, v67
	v_add3_u32 v38, v10, v38, v68
	v_bfi_b32 v68, v71, v39, v34
	v_xor3_b32 v64, v69, v64, v70
	v_dual_lshrrev_b32 v66, 3, v5 :: v_dual_lshrrev_b32 v69, 3, v6
	s_delay_alu instid0(VALU_DEP_4) | instskip(SKIP_1) | instid1(VALU_DEP_4)
	v_add3_u32 v38, v38, v65, 0x923f82a4
	v_alignbit_b32 v67, v6, v6, 7
	v_add3_u32 v36, v64, v68, v36
	v_lshrrev_b32_e32 v68, 3, v7
	v_alignbit_b32 v65, v6, v6, 18
	v_add_nc_u32_e32 v39, v38, v39
	v_alignbit_b32 v70, v7, v7, 7
	v_alignbit_b32 v72, v36, v36, 2
	;; [unrolled: 1-line block ×7, first 2 shown]
	v_xor_b32_e32 v79, v34, v36
	v_xor3_b32 v72, v77, v72, v78
	v_alignbit_b32 v64, v7, v7, 18
	v_alignbit_b32 v71, v0, v0, 7
	v_xor3_b32 v73, v74, v73, v75
	v_lshrrev_b32_e32 v75, 3, v0
	v_bitop3_b32 v76, v39, v35, v37 bitop3:0xac
	v_alignbit_b32 v74, v0, v0, 18
	v_alignbit_b32 v77, v1, v1, 18
	v_xor_b32_e32 v28, v46, v45
	s_delay_alu instid0(VALU_DEP_4) | instskip(SKIP_2) | instid1(VALU_DEP_3)
	v_add3_u32 v43, v11, v43, v76
	v_bfi_b32 v76, v79, v40, v36
	v_lshrrev_b32_e32 v79, 3, v2
	v_add3_u32 v43, v43, v73, 0xab1c5ed5
	v_lshrrev_b32_e32 v78, 3, v1
	s_delay_alu instid0(VALU_DEP_4)
	v_add3_u32 v38, v72, v76, v38
	v_alignbit_b32 v72, v2, v2, 7
	v_alignbit_b32 v76, v2, v2, 18
	v_add_nc_u32_e32 v40, v43, v40
	v_alignbit_b32 v73, v1, v1, 7
	v_alignbit_b32 v80, v38, v38, 2
	;; [unrolled: 1-line block ×7, first 2 shown]
	v_bitop3_b32 v84, v40, v37, v39 bitop3:0xac
	v_xor_b32_e32 v87, v36, v38
	v_xor3_b32 v80, v85, v80, v86
	s_delay_alu instid0(VALU_DEP_4) | instskip(NEXT) | instid1(VALU_DEP_4)
	v_xor3_b32 v81, v82, v81, v83
	v_add3_u32 v35, v4, v35, v84
	s_delay_alu instid0(VALU_DEP_4) | instskip(SKIP_2) | instid1(VALU_DEP_4)
	v_bfi_b32 v84, v87, v34, v38
	v_alignbit_b32 v82, v3, v3, 7
	v_alignbit_b32 v83, v3, v3, 18
	v_add3_u32 v35, v35, v81, 0xd807aa98
	s_delay_alu instid0(VALU_DEP_4) | instskip(SKIP_1) | instid1(VALU_DEP_3)
	v_add3_u32 v42, v80, v84, v43
	v_dual_lshrrev_b32 v81, 3, v3 :: v_dual_bitop2_b32 v17, v27, v17 bitop3:0x14
	v_add_nc_u32_e32 v34, v35, v34
	s_delay_alu instid0(VALU_DEP_3) | instskip(NEXT) | instid1(VALU_DEP_3)
	v_alignbit_b32 v29, v42, v42, 2
	v_xad_u32 v16, v17, v16, v12
	v_alignbit_b32 v45, v42, v42, 13
	v_alignbit_b32 v46, v42, v42, 22
	;; [unrolled: 1-line block ×3, first 2 shown]
	v_bitop3_b32 v44, v34, v39, v40 bitop3:0xac
	v_add3_u32 v16, v16, v5, v31
	v_xor_b32_e32 v27, v33, v30
	v_alignbit_b32 v30, v34, v34, 6
	v_alignbit_b32 v33, v34, v34, 11
	v_xor_b32_e32 v80, v38, v42
	v_xor3_b32 v29, v45, v29, v46
	v_xor_b32_e32 v45, v59, v58
	v_xad_u32 v17, v28, v32, v14
	v_xor3_b32 v30, v33, v30, v43
	v_add3_u32 v33, v5, v37, v44
	v_bfi_b32 v44, v80, v36, v42
	v_xor_b32_e32 v37, v50, v47
	v_xor_b32_e32 v43, v53, v49
	;; [unrolled: 1-line block ×3, first 2 shown]
	v_add3_u32 v30, v33, v30, 0x12835b01
	v_add3_u32 v35, v29, v44, v35
	v_xor_b32_e32 v33, v52, v48
	s_delay_alu instid0(VALU_DEP_3) | instskip(SKIP_1) | instid1(VALU_DEP_4)
	v_add_nc_u32_e32 v44, v30, v36
	v_xor_b32_e32 v36, v63, v60
	v_alignbit_b32 v29, v35, v35, 2
	v_alignbit_b32 v58, v35, v35, 13
	;; [unrolled: 1-line block ×6, first 2 shown]
	v_bitop3_b32 v53, v44, v40, v34 bitop3:0xac
	v_xor_b32_e32 v60, v42, v35
	v_xor3_b32 v29, v58, v29, v59
	s_delay_alu instid0(VALU_DEP_4) | instskip(NEXT) | instid1(VALU_DEP_4)
	v_xor3_b32 v49, v50, v49, v52
	v_add3_u32 v39, v6, v39, v53
	s_delay_alu instid0(VALU_DEP_4) | instskip(NEXT) | instid1(VALU_DEP_2)
	v_bfi_b32 v53, v60, v38, v35
	v_add3_u32 v39, v39, v49, 0x243185be
	s_delay_alu instid0(VALU_DEP_2) | instskip(NEXT) | instid1(VALU_DEP_2)
	v_add3_u32 v53, v29, v53, v30
	v_dual_add_nc_u32 v29, v39, v38 :: v_dual_bitop2_b32 v49, v76, v72 bitop3:0x14
	v_xad_u32 v38, v27, v26, v13
	v_xad_u32 v28, v37, v51, v15
	s_delay_alu instid0(VALU_DEP_4)
	v_alignbit_b32 v12, v53, v53, 2
	v_alignbit_b32 v30, v53, v53, 13
	;; [unrolled: 1-line block ×5, first 2 shown]
	v_bitop3_b32 v26, v29, v34, v44 bitop3:0xac
	v_alignbit_b32 v32, v53, v53, 22
	v_xor_b32_e32 v37, v35, v53
	v_xad_u32 v27, v43, v54, v8
	v_xor3_b32 v13, v14, v13, v15
	v_add3_u32 v14, v7, v40, v26
	v_xad_u32 v26, v33, v55, v9
	v_xor3_b32 v8, v30, v12, v32
	v_bfi_b32 v9, v37, v42, v53
	s_delay_alu instid0(VALU_DEP_4) | instskip(SKIP_2) | instid1(VALU_DEP_4)
	v_add3_u32 v33, v14, v13, 0x550c7dc3
	v_xad_u32 v13, v36, v66, v4
	v_xad_u32 v14, v45, v57, v10
	v_add3_u32 v32, v8, v9, v39
	v_xor_b32_e32 v48, v64, v70
	v_add_nc_u32_e32 v30, v33, v42
	s_delay_alu instid0(VALU_DEP_3) | instskip(SKIP_1) | instid1(VALU_DEP_3)
	v_alignbit_b32 v4, v32, v32, 2
	v_alignbit_b32 v39, v32, v32, 13
	;; [unrolled: 1-line block ×5, first 2 shown]
	v_bitop3_b32 v37, v30, v44, v29 bitop3:0xac
	v_alignbit_b32 v40, v32, v32, 22
	v_xor_b32_e32 v42, v53, v32
	v_xad_u32 v10, v48, v68, v6
	v_xor3_b32 v36, v9, v8, v36
	v_add3_u32 v34, v0, v34, v37
	v_xor3_b32 v37, v39, v4, v40
	v_bfi_b32 v39, v42, v35, v32
	v_add3_u32 v6, v38, v6, v41
	v_xad_u32 v8, v49, v79, v1
	v_add3_u32 v45, v34, v36, 0x72be5d74
	v_alignbit_b32 v36, v16, v16, 19
	v_add3_u32 v34, v37, v39, v33
	v_dual_lshrrev_b32 v37, 10, v16 :: v_dual_bitop2_b32 v47, v65, v67 bitop3:0x14
	s_delay_alu instid0(VALU_DEP_2) | instskip(NEXT) | instid1(VALU_DEP_2)
	v_alignbit_b32 v31, v34, v34, 2
	v_xad_u32 v12, v47, v69, v5
	v_add_nc_u32_e32 v5, v45, v35
	v_alignbit_b32 v41, v34, v34, 13
	v_alignbit_b32 v42, v34, v34, 22
	v_xor_b32_e32 v43, v32, v34
	v_alignbit_b32 v35, v16, v16, 17
	v_alignbit_b32 v33, v5, v5, 6
	;; [unrolled: 1-line block ×4, first 2 shown]
	v_bitop3_b32 v40, v5, v29, v30 bitop3:0xac
	v_xor3_b32 v31, v41, v31, v42
	v_bfi_b32 v41, v43, v53, v34
	v_lshrrev_b32_e32 v42, 10, v6
	v_xor3_b32 v33, v38, v33, v39
	v_add3_u32 v40, v1, v44, v40
	v_alignbit_b32 v38, v6, v6, 17
	v_alignbit_b32 v39, v6, v6, 19
	v_xor3_b32 v35, v36, v35, v37
	v_alignbit_b32 v43, v16, v16, 7
	v_add3_u32 v40, v40, v33, 0x80deb1fe
	v_add3_u32 v33, v31, v41, v45
	v_dual_lshrrev_b32 v41, 3, v16 :: v_dual_bitop2_b32 v50, v74, v71 bitop3:0x14
	v_xad_u32 v15, v46, v56, v11
	s_delay_alu instid0(VALU_DEP_4) | instskip(SKIP_1) | instid1(VALU_DEP_4)
	v_add_nc_u32_e32 v31, v40, v53
	v_xor3_b32 v38, v39, v38, v42
	v_xad_u32 v11, v50, v75, v7
	v_add3_u32 v35, v17, v7, v35
	v_alignbit_b32 v44, v16, v16, 18
	v_alignbit_b32 v48, v31, v31, 6
	;; [unrolled: 1-line block ×4, first 2 shown]
	v_bitop3_b32 v51, v31, v30, v5 bitop3:0xac
	v_add3_u32 v7, v28, v0, v38
	v_xor_b32_e32 v52, v77, v73
	v_alignbit_b32 v47, v33, v33, 2
	v_xor3_b32 v48, v49, v48, v50
	v_add3_u32 v29, v2, v29, v51
	v_alignbit_b32 v53, v33, v33, 22
	v_xad_u32 v9, v52, v78, v0
	v_alignbit_b32 v52, v33, v33, 13
	v_xor_b32_e32 v54, v34, v33
	v_add3_u32 v29, v29, v48, 0x9bdc06a7
	v_xor_b32_e32 v39, v44, v43
	v_alignbit_b32 v45, v6, v6, 7
	v_xor3_b32 v36, v52, v47, v53
	v_bfi_b32 v37, v54, v32, v33
	v_add_nc_u32_e32 v32, v29, v32
	v_xad_u32 v28, v39, v41, v3
	v_alignbit_b32 v46, v6, v6, 18
	v_lshrrev_b32_e32 v49, 3, v6
	v_add3_u32 v36, v36, v37, v40
	v_alignbit_b32 v17, v32, v32, 6
	v_alignbit_b32 v37, v32, v32, 11
	;; [unrolled: 1-line block ×3, first 2 shown]
	v_bitop3_b32 v39, v32, v5, v31 bitop3:0xac
	v_xor_b32_e32 v43, v33, v36
	v_alignbit_b32 v0, v36, v36, 2
	v_alignbit_b32 v40, v36, v36, 13
	v_xor3_b32 v37, v37, v17, v38
	v_add3_u32 v30, v3, v30, v39
	v_alignbit_b32 v41, v36, v36, 22
	v_bfi_b32 v39, v43, v34, v36
	v_xor_b32_e32 v42, v46, v45
	v_alignbit_b32 v38, v35, v35, 17
	v_add3_u32 v30, v30, v37, 0xc19bf174
	v_xor3_b32 v0, v40, v0, v41
	v_alignbit_b32 v37, v35, v35, 19
	v_xad_u32 v17, v42, v49, v16
	s_delay_alu instid0(VALU_DEP_4) | instskip(NEXT) | instid1(VALU_DEP_4)
	v_dual_lshrrev_b32 v40, 10, v35 :: v_dual_add_nc_u32 v34, v30, v34
	v_add3_u32 v29, v0, v39, v29
	v_alignbit_b32 v41, v7, v7, 17
	v_alignbit_b32 v0, v7, v7, 19
	v_lshrrev_b32_e32 v39, 10, v7
	v_alignbit_b32 v44, v34, v34, 6
	v_alignbit_b32 v45, v34, v34, 11
	;; [unrolled: 1-line block ×3, first 2 shown]
	v_bitop3_b32 v47, v34, v31, v32 bitop3:0xac
	v_alignbit_b32 v43, v29, v29, 2
	v_alignbit_b32 v48, v29, v29, 13
	;; [unrolled: 1-line block ×3, first 2 shown]
	v_xor3_b32 v44, v45, v44, v46
	v_add3_u32 v5, v16, v5, v47
	v_xor_b32_e32 v50, v36, v29
	v_alignbit_b32 v42, v35, v35, 7
	v_alignbit_b32 v45, v35, v35, 18
	v_xor3_b32 v43, v48, v43, v49
	v_add3_u32 v44, v5, v44, 0xe49b69c1
	v_bfi_b32 v47, v50, v33, v29
	v_xor3_b32 v37, v37, v38, v40
	v_xor3_b32 v0, v0, v41, v39
	s_delay_alu instid0(VALU_DEP_4) | instskip(NEXT) | instid1(VALU_DEP_4)
	v_dual_add_nc_u32 v33, v44, v33 :: v_dual_bitop2_b32 v38, v45, v42 bitop3:0x14
	v_add3_u32 v30, v43, v47, v30
	v_alignbit_b32 v5, v7, v7, 7
	v_alignbit_b32 v48, v7, v7, 18
	v_dual_lshrrev_b32 v49, 3, v7 :: v_dual_bitop2_b32 v58, v83, v82 bitop3:0x14
	v_alignbit_b32 v40, v33, v33, 6
	v_alignbit_b32 v41, v33, v33, 11
	;; [unrolled: 1-line block ×3, first 2 shown]
	v_bitop3_b32 v43, v33, v32, v34 bitop3:0xac
	v_xor_b32_e32 v50, v29, v30
	v_alignbit_b32 v39, v30, v30, 2
	v_alignbit_b32 v45, v30, v30, 13
	v_xor3_b32 v40, v41, v40, v42
	v_add3_u32 v31, v6, v31, v43
	v_alignbit_b32 v47, v30, v30, 22
	v_xor_b32_e32 v41, v48, v5
	v_add3_u32 v27, v27, v1, v37
	v_bfi_b32 v37, v50, v36, v30
	v_add3_u32 v31, v31, v40, 0xefbe4786
	v_xor3_b32 v1, v45, v39, v47
	v_add3_u32 v26, v26, v2, v0
	v_xad_u32 v0, v41, v49, v35
	v_xad_u32 v4, v58, v81, v2
	v_dual_add_nc_u32 v36, v31, v36 :: v_dual_lshrrev_b32 v46, 3, v35
	v_add3_u32 v2, v1, v37, v44
	v_alignbit_b32 v1, v27, v27, 17
	v_alignbit_b32 v37, v27, v27, 19
	s_delay_alu instid0(VALU_DEP_4)
	v_alignbit_b32 v40, v36, v36, 6
	v_alignbit_b32 v41, v36, v36, 11
	;; [unrolled: 1-line block ×3, first 2 shown]
	v_bitop3_b32 v43, v36, v34, v33 bitop3:0xac
	v_xad_u32 v5, v38, v46, v6
	v_xor_b32_e32 v46, v30, v2
	v_alignbit_b32 v39, v2, v2, 2
	v_xor3_b32 v40, v41, v40, v42
	v_add3_u32 v32, v35, v32, v43
	v_alignbit_b32 v44, v2, v2, 13
	v_alignbit_b32 v45, v2, v2, 22
	v_bfi_b32 v43, v46, v29, v2
	v_lshrrev_b32_e32 v38, 10, v27
	v_add3_u32 v32, v32, v40, 0xfc19dc6
	v_alignbit_b32 v41, v26, v26, 17
	v_xor3_b32 v39, v44, v39, v45
	v_alignbit_b32 v42, v26, v26, 19
	s_delay_alu instid0(VALU_DEP_4) | instskip(SKIP_1) | instid1(VALU_DEP_4)
	v_dual_lshrrev_b32 v40, 10, v26 :: v_dual_add_nc_u32 v29, v32, v29
	v_alignbit_b32 v44, v27, v27, 7
	v_add3_u32 v31, v39, v43, v31
	v_alignbit_b32 v45, v27, v27, 18
	v_lshrrev_b32_e32 v39, 3, v27
	v_alignbit_b32 v48, v29, v29, 6
	v_alignbit_b32 v49, v29, v29, 11
	v_alignbit_b32 v50, v29, v29, 25
	v_bitop3_b32 v51, v29, v33, v36 bitop3:0xac
	v_alignbit_b32 v47, v31, v31, 2
	v_alignbit_b32 v52, v31, v31, 13
	v_alignbit_b32 v53, v31, v31, 22
	v_xor3_b32 v48, v49, v48, v50
	v_add3_u32 v34, v7, v34, v51
	v_xor_b32_e32 v54, v2, v31
	v_xor3_b32 v1, v37, v1, v38
	v_xor3_b32 v37, v52, v47, v53
	;; [unrolled: 1-line block ×3, first 2 shown]
	v_add3_u32 v34, v34, v48, 0x240ca1cc
	v_bfi_b32 v38, v54, v30, v31
	v_xor_b32_e32 v41, v45, v44
	v_alignbit_b32 v43, v26, v26, 7
	v_alignbit_b32 v46, v26, v26, 18
	v_add_nc_u32_e32 v30, v34, v30
	v_add3_u32 v32, v37, v38, v32
	v_add3_u32 v37, v14, v3, v1
	;; [unrolled: 1-line block ×3, first 2 shown]
	v_xad_u32 v3, v41, v39, v7
	v_alignbit_b32 v1, v30, v30, 6
	v_alignbit_b32 v16, v30, v30, 11
	;; [unrolled: 1-line block ×3, first 2 shown]
	v_bitop3_b32 v39, v30, v36, v29 bitop3:0xac
	v_xor_b32_e32 v42, v46, v43
	v_alignbit_b32 v15, v32, v32, 2
	v_alignbit_b32 v40, v32, v32, 13
	;; [unrolled: 1-line block ×3, first 2 shown]
	v_xor_b32_e32 v43, v31, v32
	v_xor3_b32 v16, v16, v1, v38
	v_add3_u32 v33, v27, v33, v39
	v_lshrrev_b32_e32 v49, 3, v26
	v_xor3_b32 v15, v40, v15, v41
	v_bfi_b32 v39, v43, v2, v32
	v_alignbit_b32 v38, v37, v37, 17
	v_add3_u32 v16, v33, v16, 0x2de92c6f
	v_xad_u32 v1, v42, v49, v27
	v_alignbit_b32 v33, v37, v37, 19
	v_add3_u32 v15, v15, v39, v34
	s_delay_alu instid0(VALU_DEP_4) | instskip(SKIP_2) | instid1(VALU_DEP_4)
	v_dual_lshrrev_b32 v40, 10, v37 :: v_dual_add_nc_u32 v34, v16, v2
	v_alignbit_b32 v41, v14, v14, 17
	v_alignbit_b32 v2, v14, v14, 19
	;; [unrolled: 1-line block ×7, first 2 shown]
	v_bitop3_b32 v47, v34, v29, v30 bitop3:0xac
	v_alignbit_b32 v49, v15, v15, 22
	v_dual_lshrrev_b32 v39, 10, v14 :: v_dual_bitop2_b32 v50, v32, v15 bitop3:0x14
	s_delay_alu instid0(VALU_DEP_4) | instskip(NEXT) | instid1(VALU_DEP_4)
	v_xor3_b32 v44, v45, v44, v46
	v_add3_u32 v36, v26, v36, v47
	s_delay_alu instid0(VALU_DEP_4) | instskip(NEXT) | instid1(VALU_DEP_4)
	v_xor3_b32 v43, v48, v43, v49
	v_bfi_b32 v47, v50, v31, v15
	v_alignbit_b32 v42, v37, v37, 7
	v_alignbit_b32 v45, v37, v37, 18
	v_add3_u32 v36, v36, v44, 0x4a7484aa
	v_xor3_b32 v2, v2, v41, v39
	v_add3_u32 v16, v43, v47, v16
	v_alignbit_b32 v44, v14, v14, 7
	v_alignbit_b32 v48, v14, v14, 18
	v_add_nc_u32_e32 v43, v36, v31
	v_xor3_b32 v31, v33, v38, v40
	v_alignbit_b32 v38, v16, v16, 2
	v_alignbit_b32 v47, v16, v16, 22
	v_xor_b32_e32 v50, v15, v16
	v_alignbit_b32 v39, v43, v43, 6
	v_alignbit_b32 v40, v43, v43, 11
	;; [unrolled: 1-line block ×3, first 2 shown]
	v_dual_lshrrev_b32 v49, 3, v14 :: v_dual_lshrrev_b32 v46, 3, v37
	s_delay_alu instid0(VALU_DEP_2)
	v_xor3_b32 v39, v40, v39, v41
	v_add3_u32 v41, v13, v6, v31
	v_add3_u32 v31, v12, v35, v2
	v_xor_b32_e32 v33, v45, v42
	v_bitop3_b32 v42, v43, v30, v34 bitop3:0xac
	v_alignbit_b32 v45, v16, v16, 13
	v_xor_b32_e32 v40, v48, v44
	v_bfi_b32 v13, v50, v32, v16
	v_xad_u32 v12, v33, v46, v26
	v_add3_u32 v29, v37, v29, v42
	v_xor3_b32 v6, v45, v38, v47
	v_xad_u32 v2, v40, v49, v37
	v_alignbit_b32 v33, v41, v41, 19
	v_lshrrev_b32_e32 v35, 10, v41
	v_add3_u32 v29, v29, v39, 0x5cb0a9dc
	v_add3_u32 v13, v6, v13, v36
	v_alignbit_b32 v6, v41, v41, 17
	s_delay_alu instid0(VALU_DEP_3) | instskip(NEXT) | instid1(VALU_DEP_3)
	v_add_nc_u32_e32 v32, v29, v32
	v_alignbit_b32 v36, v13, v13, 2
	v_alignbit_b32 v44, v13, v13, 13
	;; [unrolled: 1-line block ×3, first 2 shown]
	v_xor_b32_e32 v46, v16, v13
	v_alignbit_b32 v38, v32, v32, 6
	v_alignbit_b32 v39, v32, v32, 11
	;; [unrolled: 1-line block ×3, first 2 shown]
	v_bitop3_b32 v42, v32, v34, v43 bitop3:0xac
	v_xor3_b32 v36, v44, v36, v45
	v_xor3_b32 v6, v33, v6, v35
	v_alignbit_b32 v44, v41, v41, 7
	v_xor3_b32 v38, v39, v38, v40
	v_add3_u32 v30, v14, v30, v42
	v_bfi_b32 v42, v46, v15, v13
	v_alignbit_b32 v39, v31, v31, 17
	v_alignbit_b32 v40, v31, v31, 19
	;; [unrolled: 1-line block ×3, first 2 shown]
	v_add3_u32 v30, v30, v38, 0x76f988da
	v_lshrrev_b32_e32 v38, 10, v31
	v_add3_u32 v29, v36, v42, v29
	v_alignbit_b32 v46, v31, v31, 18
	s_delay_alu instid0(VALU_DEP_4) | instskip(NEXT) | instid1(VALU_DEP_4)
	v_dual_lshrrev_b32 v42, 3, v41 :: v_dual_add_nc_u32 v36, v30, v15
	v_xor3_b32 v38, v40, v39, v38
	s_delay_alu instid0(VALU_DEP_4)
	v_alignbit_b32 v47, v29, v29, 2
	v_alignbit_b32 v52, v29, v29, 13
	;; [unrolled: 1-line block ×6, first 2 shown]
	v_bitop3_b32 v51, v36, v43, v32 bitop3:0xac
	v_add3_u32 v11, v11, v27, v38
	v_xor_b32_e32 v54, v13, v29
	v_xor3_b32 v33, v52, v47, v53
	v_xor3_b32 v48, v49, v48, v50
	v_add3_u32 v34, v41, v34, v51
	v_alignbit_b32 v15, v31, v31, 7
	v_bfi_b32 v35, v54, v16, v29
	v_lshrrev_b32_e32 v49, 3, v31
	s_delay_alu instid0(VALU_DEP_4) | instskip(NEXT) | instid1(VALU_DEP_4)
	v_add3_u32 v34, v34, v48, 0x983e5152
	v_xor_b32_e32 v40, v46, v15
	s_delay_alu instid0(VALU_DEP_4) | instskip(SKIP_3) | instid1(VALU_DEP_4)
	v_add3_u32 v30, v33, v35, v30
	v_add3_u32 v15, v10, v7, v6
	v_xor_b32_e32 v39, v45, v44
	v_add_nc_u32_e32 v33, v34, v16
	v_alignbit_b32 v7, v30, v30, 2
	v_alignbit_b32 v38, v30, v30, 13
	s_delay_alu instid0(VALU_DEP_4) | instskip(NEXT) | instid1(VALU_DEP_4)
	v_xad_u32 v10, v39, v42, v14
	v_alignbit_b32 v6, v33, v33, 6
	v_alignbit_b32 v16, v33, v33, 11
	;; [unrolled: 1-line block ×3, first 2 shown]
	v_bitop3_b32 v35, v33, v32, v36 bitop3:0xac
	v_alignbit_b32 v39, v30, v30, 22
	v_xor_b32_e32 v42, v29, v30
	s_delay_alu instid0(VALU_DEP_4) | instskip(NEXT) | instid1(VALU_DEP_4)
	v_xor3_b32 v16, v16, v6, v27
	v_add3_u32 v27, v31, v43, v35
	s_delay_alu instid0(VALU_DEP_4) | instskip(NEXT) | instid1(VALU_DEP_4)
	v_xor3_b32 v7, v38, v7, v39
	v_bfi_b32 v38, v42, v13, v30
	v_xad_u32 v6, v40, v49, v41
	v_alignbit_b32 v35, v15, v15, 17
	v_add3_u32 v16, v27, v16, 0xa831c66d
	v_alignbit_b32 v27, v15, v15, 19
	v_add3_u32 v34, v7, v38, v34
	v_lshrrev_b32_e32 v39, 10, v15
	v_alignbit_b32 v40, v11, v11, 17
	v_add_nc_u32_e32 v38, v16, v13
	v_alignbit_b32 v7, v11, v11, 19
	v_alignbit_b32 v43, v34, v34, 2
	;; [unrolled: 1-line block ×7, first 2 shown]
	v_bitop3_b32 v47, v38, v36, v33 bitop3:0xac
	v_xor_b32_e32 v50, v30, v34
	v_xor3_b32 v43, v48, v43, v49
	v_lshrrev_b32_e32 v13, 10, v11
	v_xor3_b32 v44, v45, v44, v46
	v_add3_u32 v32, v15, v32, v47
	v_bfi_b32 v47, v50, v29, v34
	v_alignbit_b32 v42, v15, v15, 7
	v_xor3_b32 v7, v7, v40, v13
	v_alignbit_b32 v45, v15, v15, 18
	v_add3_u32 v32, v32, v44, 0xb00327c8
	v_add3_u32 v43, v43, v47, v16
	v_xor3_b32 v16, v27, v35, v39
	v_alignbit_b32 v44, v11, v11, 7
	v_alignbit_b32 v48, v11, v11, 18
	v_dual_add_nc_u32 v47, v32, v29 :: v_dual_lshrrev_b32 v49, 3, v11
	v_xor_b32_e32 v27, v45, v42
	v_alignbit_b32 v13, v43, v43, 2
	v_alignbit_b32 v42, v43, v43, 13
	s_delay_alu instid0(VALU_DEP_4)
	v_alignbit_b32 v29, v47, v47, 6
	v_alignbit_b32 v35, v47, v47, 11
	;; [unrolled: 1-line block ×3, first 2 shown]
	v_bitop3_b32 v40, v47, v33, v38 bitop3:0xac
	v_alignbit_b32 v45, v43, v43, 22
	v_add3_u32 v16, v9, v26, v16
	v_lshrrev_b32_e32 v46, 3, v15
	v_xor3_b32 v29, v35, v29, v39
	v_add3_u32 v35, v11, v36, v40
	v_xor_b32_e32 v36, v48, v44
	v_xor3_b32 v9, v42, v13, v45
	v_add3_u32 v13, v8, v37, v7
	s_delay_alu instid0(VALU_DEP_4) | instskip(SKIP_2) | instid1(VALU_DEP_3)
	v_add3_u32 v29, v35, v29, 0xbf597fc7
	v_xor_b32_e32 v50, v34, v43
	v_xad_u32 v7, v36, v49, v15
	v_add_nc_u32_e32 v35, v29, v30
	s_delay_alu instid0(VALU_DEP_3) | instskip(SKIP_1) | instid1(VALU_DEP_3)
	v_bfi_b32 v26, v50, v30, v43
	v_lshrrev_b32_e32 v30, 10, v16
	v_alignbit_b32 v36, v35, v35, 6
	v_alignbit_b32 v37, v35, v35, 11
	;; [unrolled: 1-line block ×3, first 2 shown]
	v_bitop3_b32 v40, v35, v38, v47 bitop3:0xac
	s_delay_alu instid0(VALU_DEP_2) | instskip(NEXT) | instid1(VALU_DEP_2)
	v_xor3_b32 v36, v37, v36, v39
	v_add3_u32 v33, v16, v33, v40
	v_alignbit_b32 v37, v13, v13, 17
	v_alignbit_b32 v39, v13, v13, 19
	s_delay_alu instid0(VALU_DEP_3)
	v_add3_u32 v33, v33, v36, 0xc6e00bf3
	v_lshrrev_b32_e32 v36, 10, v13
	v_xad_u32 v8, v27, v46, v31
	v_add3_u32 v27, v9, v26, v32
	v_alignbit_b32 v9, v16, v16, 17
	v_alignbit_b32 v26, v16, v16, 19
	v_xor3_b32 v36, v39, v37, v36
	s_delay_alu instid0(VALU_DEP_4) | instskip(SKIP_4) | instid1(VALU_DEP_3)
	v_alignbit_b32 v32, v27, v27, 2
	v_alignbit_b32 v42, v27, v27, 13
	;; [unrolled: 1-line block ×3, first 2 shown]
	v_xor_b32_e32 v45, v43, v27
	v_xor3_b32 v9, v26, v9, v30
	v_xor3_b32 v32, v42, v32, v44
	s_delay_alu instid0(VALU_DEP_3) | instskip(SKIP_3) | instid1(VALU_DEP_4)
	v_bfi_b32 v40, v45, v34, v27
	v_alignbit_b32 v42, v16, v16, 7
	v_alignbit_b32 v44, v16, v16, 18
	;; [unrolled: 1-line block ×3, first 2 shown]
	v_add3_u32 v40, v32, v40, v29
	v_dual_add_nc_u32 v29, v33, v34 :: v_dual_lshrrev_b32 v32, 3, v16
	v_alignbit_b32 v34, v13, v13, 7
	s_delay_alu instid0(VALU_DEP_3) | instskip(NEXT) | instid1(VALU_DEP_3)
	v_alignbit_b32 v46, v40, v40, 2
	v_alignbit_b32 v48, v29, v29, 6
	;; [unrolled: 1-line block ×4, first 2 shown]
	v_bitop3_b32 v51, v29, v47, v35 bitop3:0xac
	v_alignbit_b32 v52, v40, v40, 13
	v_alignbit_b32 v53, v40, v40, 22
	v_xor_b32_e32 v54, v27, v40
	v_xor3_b32 v48, v49, v48, v50
	v_add3_u32 v38, v13, v38, v51
	v_lshrrev_b32_e32 v49, 3, v13
	v_xor3_b32 v26, v52, v46, v53
	v_bfi_b32 v30, v54, v43, v40
	v_xor_b32_e32 v34, v45, v34
	v_add3_u32 v38, v38, v48, 0xd5a79147
	v_xor_b32_e32 v37, v44, v42
	s_delay_alu instid0(VALU_DEP_4) | instskip(SKIP_1) | instid1(VALU_DEP_4)
	v_add3_u32 v39, v26, v30, v33
	v_add3_u32 v26, v4, v14, v9
	v_add_nc_u32_e32 v30, v38, v43
	v_add3_u32 v14, v28, v41, v36
	v_xad_u32 v9, v37, v32, v11
	v_alignbit_b32 v28, v39, v39, 2
	v_alignbit_b32 v37, v39, v39, 13
	;; [unrolled: 1-line block ×5, first 2 shown]
	v_bitop3_b32 v36, v30, v35, v29 bitop3:0xac
	v_alignbit_b32 v41, v39, v39, 22
	v_xor_b32_e32 v42, v40, v39
	v_alignbit_b32 v43, v26, v26, 7
	v_xor3_b32 v32, v32, v4, v33
	v_add3_u32 v33, v26, v47, v36
	v_xor3_b32 v28, v37, v28, v41
	v_lshrrev_b32_e32 v41, 10, v26
	v_bfi_b32 v36, v42, v27, v39
	v_xad_u32 v4, v34, v49, v16
	v_add3_u32 v33, v33, v32, 0x6ca6351
	v_alignbit_b32 v34, v26, v26, 17
	v_alignbit_b32 v37, v26, v26, 19
	v_add3_u32 v32, v28, v36, v38
	s_delay_alu instid0(VALU_DEP_4) | instskip(SKIP_2) | instid1(VALU_DEP_4)
	v_dual_lshrrev_b32 v38, 10, v14 :: v_dual_add_nc_u32 v27, v33, v27
	v_alignbit_b32 v42, v14, v14, 17
	v_alignbit_b32 v36, v14, v14, 19
	;; [unrolled: 1-line block ×7, first 2 shown]
	v_bitop3_b32 v47, v27, v29, v30 bitop3:0xac
	v_alignbit_b32 v49, v32, v32, 22
	v_xor_b32_e32 v50, v39, v32
	v_xor3_b32 v34, v37, v34, v41
	v_xor3_b32 v44, v45, v44, v46
	v_add3_u32 v35, v14, v35, v47
	v_lshrrev_b32_e32 v46, 3, v26
	v_xor3_b32 v28, v48, v28, v49
	v_bfi_b32 v47, v50, v40, v32
	v_xor3_b32 v36, v36, v42, v38
	v_add3_u32 v35, v35, v44, 0x14292967
	v_add3_u32 v17, v17, v31, v34
	v_alignbit_b32 v44, v14, v14, 7
	v_add3_u32 v33, v28, v47, v33
	s_delay_alu instid0(VALU_DEP_4) | instskip(SKIP_2) | instid1(VALU_DEP_4)
	v_dual_lshrrev_b32 v37, 3, v14 :: v_dual_add_nc_u32 v28, v35, v40
	v_alignbit_b32 v48, v14, v14, 18
	v_alignbit_b32 v45, v26, v26, 18
	;; [unrolled: 1-line block ×7, first 2 shown]
	v_bitop3_b32 v41, v28, v30, v27 bitop3:0xac
	v_alignbit_b32 v47, v33, v33, 22
	v_xor_b32_e32 v49, v32, v33
	s_delay_alu instid0(VALU_DEP_4) | instskip(NEXT) | instid1(VALU_DEP_4)
	v_xor3_b32 v34, v38, v34, v40
	v_add3_u32 v29, v17, v29, v41
	s_delay_alu instid0(VALU_DEP_4) | instskip(NEXT) | instid1(VALU_DEP_4)
	v_xor3_b32 v31, v42, v31, v47
	v_bfi_b32 v41, v49, v39, v33
	s_delay_alu instid0(VALU_DEP_3) | instskip(SKIP_1) | instid1(VALU_DEP_3)
	v_add3_u32 v29, v29, v34, 0x27b70a85
	v_xor_b32_e32 v40, v48, v44
	v_add3_u32 v31, v31, v41, v35
	v_add3_u32 v34, v5, v15, v36
	v_xor_b32_e32 v38, v45, v43
	v_add_nc_u32_e32 v35, v29, v39
	v_xad_u32 v5, v40, v37, v26
	v_alignbit_b32 v36, v17, v17, 17
	v_alignbit_b32 v37, v17, v17, 19
	;; [unrolled: 1-line block ×6, first 2 shown]
	v_bitop3_b32 v43, v35, v27, v28 bitop3:0xac
	v_alignbit_b32 v44, v31, v31, 13
	v_alignbit_b32 v45, v31, v31, 22
	s_delay_alu instid0(VALU_DEP_4) | instskip(NEXT) | instid1(VALU_DEP_4)
	v_xor3_b32 v40, v41, v40, v42
	v_add3_u32 v30, v34, v30, v43
	v_alignbit_b32 v41, v34, v34, 17
	s_delay_alu instid0(VALU_DEP_4)
	v_xor3_b32 v39, v44, v39, v45
	v_alignbit_b32 v42, v34, v34, 19
	v_alignbit_b32 v44, v17, v17, 7
	v_add3_u32 v30, v30, v40, 0x2e1b2138
	v_lshrrev_b32_e32 v40, 10, v34
	v_xad_u32 v15, v38, v46, v13
	v_dual_lshrrev_b32 v38, 10, v17 :: v_dual_bitop2_b32 v46, v33, v31 bitop3:0x14
	s_delay_alu instid0(VALU_DEP_3) | instskip(NEXT) | instid1(VALU_DEP_2)
	v_xor3_b32 v40, v42, v41, v40
	v_xor3_b32 v36, v37, v36, v38
	s_delay_alu instid0(VALU_DEP_3) | instskip(SKIP_2) | instid1(VALU_DEP_4)
	v_bfi_b32 v43, v46, v32, v31
	v_dual_add_nc_u32 v32, v30, v32 :: v_dual_lshrrev_b32 v38, 3, v17
	v_alignbit_b32 v37, v17, v17, 18
	v_add3_u32 v36, v0, v11, v36
	s_delay_alu instid0(VALU_DEP_4) | instskip(NEXT) | instid1(VALU_DEP_4)
	v_add3_u32 v29, v39, v43, v29
	v_alignbit_b32 v11, v32, v32, 6
	v_alignbit_b32 v39, v32, v32, 11
	;; [unrolled: 1-line block ×3, first 2 shown]
	v_bitop3_b32 v45, v32, v28, v35 bitop3:0xac
	v_xor_b32_e32 v48, v31, v29
	v_alignbit_b32 v0, v29, v29, 2
	v_alignbit_b32 v46, v29, v29, 13
	v_xor3_b32 v11, v39, v11, v43
	v_add3_u32 v27, v36, v27, v45
	v_alignbit_b32 v39, v34, v34, 7
	v_alignbit_b32 v43, v34, v34, 18
	;; [unrolled: 1-line block ×3, first 2 shown]
	v_add3_u32 v40, v3, v16, v40
	v_add3_u32 v11, v27, v11, 0x4d2c6dfc
	v_lshrrev_b32_e32 v27, 3, v34
	v_bfi_b32 v45, v48, v33, v29
	v_xor_b32_e32 v37, v37, v44
	v_xor_b32_e32 v39, v43, v39
	v_add_nc_u32_e32 v33, v11, v33
	v_xor3_b32 v0, v46, v0, v47
	v_alignbit_b32 v16, v36, v36, 17
	s_delay_alu instid0(VALU_DEP_3) | instskip(SKIP_4) | instid1(VALU_DEP_3)
	v_alignbit_b32 v3, v33, v33, 6
	v_alignbit_b32 v41, v33, v33, 11
	;; [unrolled: 1-line block ×3, first 2 shown]
	v_bitop3_b32 v43, v33, v35, v32 bitop3:0xac
	v_add3_u32 v30, v0, v45, v30
	v_xor3_b32 v3, v41, v3, v42
	s_delay_alu instid0(VALU_DEP_3)
	v_add3_u32 v28, v40, v28, v43
	v_alignbit_b32 v41, v36, v36, 19
	v_lshrrev_b32_e32 v42, 10, v36
	v_alignbit_b32 v0, v30, v30, 2
	v_alignbit_b32 v44, v30, v30, 13
	v_add3_u32 v28, v28, v3, 0x53380d13
	v_alignbit_b32 v45, v30, v30, 22
	v_xor_b32_e32 v46, v29, v30
	v_xad_u32 v3, v39, v27, v17
	v_xor3_b32 v16, v41, v16, v42
	v_add_nc_u32_e32 v27, v28, v31
	v_xor3_b32 v43, v44, v0, v45
	v_bfi_b32 v44, v46, v31, v30
	v_xad_u32 v0, v37, v38, v14
	v_add3_u32 v38, v1, v13, v16
	v_alignbit_b32 v13, v27, v27, 6
	v_alignbit_b32 v16, v27, v27, 11
	;; [unrolled: 1-line block ×3, first 2 shown]
	v_bitop3_b32 v41, v27, v32, v33 bitop3:0xac
	v_add3_u32 v11, v43, v44, v11
	v_alignbit_b32 v31, v40, v40, 17
	v_alignbit_b32 v37, v40, v40, 19
	v_xor3_b32 v13, v16, v13, v39
	v_add3_u32 v16, v38, v35, v41
	v_alignbit_b32 v1, v11, v11, 2
	v_alignbit_b32 v42, v11, v11, 13
	;; [unrolled: 1-line block ×3, first 2 shown]
	v_dual_lshrrev_b32 v35, 10, v40 :: v_dual_bitop2_b32 v44, v30, v11 bitop3:0x14
	v_add3_u32 v13, v16, v13, 0x650a7354
	v_alignbit_b32 v39, v36, v36, 7
	s_delay_alu instid0(VALU_DEP_4) | instskip(NEXT) | instid1(VALU_DEP_4)
	v_xor3_b32 v1, v42, v1, v43
	v_bfi_b32 v41, v44, v29, v11
	v_xor3_b32 v31, v37, v31, v35
	v_dual_lshrrev_b32 v35, 3, v36 :: v_dual_add_nc_u32 v29, v13, v29
	v_alignbit_b32 v16, v36, v36, 18
	s_delay_alu instid0(VALU_DEP_4) | instskip(NEXT) | instid1(VALU_DEP_4)
	v_add3_u32 v28, v1, v41, v28
	v_add3_u32 v1, v12, v26, v31
	v_alignbit_b32 v12, v38, v38, 17
	v_alignbit_b32 v31, v29, v29, 6
	;; [unrolled: 1-line block ×4, first 2 shown]
	v_bitop3_b32 v43, v29, v33, v27 bitop3:0xac
	v_alignbit_b32 v26, v28, v28, 2
	v_alignbit_b32 v44, v28, v28, 13
	;; [unrolled: 1-line block ×3, first 2 shown]
	v_xor_b32_e32 v46, v11, v28
	v_xor3_b32 v31, v41, v31, v42
	v_add3_u32 v32, v1, v32, v43
	v_alignbit_b32 v41, v38, v38, 19
	v_lshrrev_b32_e32 v42, 10, v38
	v_xor3_b32 v26, v44, v26, v45
	v_bfi_b32 v43, v46, v30, v28
	v_add3_u32 v31, v32, v31, 0x766a0abb
	v_lshrrev_b32_e32 v44, 3, v40
	v_xor3_b32 v12, v41, v12, v42
	v_xor_b32_e32 v16, v16, v39
	v_add3_u32 v13, v26, v43, v13
	v_add_nc_u32_e32 v26, v31, v30
	v_alignbit_b32 v37, v40, v40, 7
	v_add3_u32 v39, v2, v14, v12
	v_alignbit_b32 v32, v40, v40, 18
	v_alignbit_b32 v2, v13, v13, 2
	;; [unrolled: 1-line block ×5, first 2 shown]
	v_bitop3_b32 v42, v26, v27, v29 bitop3:0xac
	v_alignbit_b32 v43, v13, v13, 13
	v_alignbit_b32 v45, v13, v13, 22
	;; [unrolled: 1-line block ×3, first 2 shown]
	v_xor3_b32 v12, v14, v12, v41
	v_add3_u32 v14, v39, v33, v42
	v_alignbit_b32 v33, v1, v1, 19
	v_lshrrev_b32_e32 v41, 10, v1
	v_xor3_b32 v2, v43, v2, v45
	v_xor_b32_e32 v32, v32, v37
	v_add3_u32 v14, v14, v12, 0x81c2c92e
	v_xor_b32_e32 v46, v28, v13
	v_xor3_b32 v30, v33, v30, v41
	v_xad_u32 v12, v16, v35, v34
	v_alignbit_b32 v16, v39, v39, 17
	s_delay_alu instid0(VALU_DEP_4) | instskip(NEXT) | instid1(VALU_DEP_4)
	v_bfi_b32 v42, v46, v11, v13
	v_add3_u32 v10, v10, v17, v30
	s_delay_alu instid0(VALU_DEP_2) | instskip(SKIP_2) | instid1(VALU_DEP_3)
	v_add3_u32 v2, v2, v42, v31
	v_add_nc_u32_e32 v31, v14, v11
	v_xad_u32 v11, v32, v44, v36
	v_alignbit_b32 v17, v2, v2, 2
	s_delay_alu instid0(VALU_DEP_3)
	v_alignbit_b32 v30, v31, v31, 6
	v_alignbit_b32 v32, v31, v31, 11
	;; [unrolled: 1-line block ×3, first 2 shown]
	v_bitop3_b32 v35, v31, v29, v26 bitop3:0xac
	v_alignbit_b32 v37, v2, v2, 13
	v_alignbit_b32 v41, v2, v2, 22
	s_delay_alu instid0(VALU_DEP_4) | instskip(NEXT) | instid1(VALU_DEP_4)
	v_xor3_b32 v30, v32, v30, v33
	v_add3_u32 v27, v10, v27, v35
	v_alignbit_b32 v32, v39, v39, 19
	v_lshrrev_b32_e32 v33, 10, v39
	v_xor3_b32 v17, v37, v17, v41
	v_alignbit_b32 v37, v38, v38, 18
	v_add3_u32 v27, v27, v30, 0x92722c85
	v_xor_b32_e32 v42, v13, v2
	v_xor3_b32 v16, v32, v16, v33
	v_alignbit_b32 v32, v10, v10, 17
	v_alignbit_b32 v30, v38, v38, 7
	s_delay_alu instid0(VALU_DEP_4) | instskip(SKIP_2) | instid1(VALU_DEP_3)
	v_bfi_b32 v35, v42, v28, v2
	v_add_nc_u32_e32 v28, v27, v28
	v_add3_u32 v16, v6, v34, v16
	v_add3_u32 v17, v17, v35, v14
	s_delay_alu instid0(VALU_DEP_3)
	v_alignbit_b32 v33, v28, v28, 6
	v_alignbit_b32 v34, v28, v28, 11
	;; [unrolled: 1-line block ×3, first 2 shown]
	v_bitop3_b32 v41, v28, v26, v31 bitop3:0xac
	v_dual_lshrrev_b32 v14, 3, v38 :: v_dual_bitop2_b32 v44, v2, v17 bitop3:0x14
	v_alignbit_b32 v6, v17, v17, 2
	v_alignbit_b32 v42, v17, v17, 13
	;; [unrolled: 1-line block ×3, first 2 shown]
	v_xor3_b32 v33, v34, v33, v35
	v_add3_u32 v29, v16, v29, v41
	v_alignbit_b32 v34, v10, v10, 19
	v_lshrrev_b32_e32 v35, 10, v10
	v_xor3_b32 v6, v42, v6, v43
	v_bfi_b32 v41, v44, v13, v17
	v_add3_u32 v29, v29, v33, 0xa2bfe8a1
	v_alignbit_b32 v33, v1, v1, 7
	s_delay_alu instid0(VALU_DEP_3)
	v_add3_u32 v27, v6, v41, v27
	v_lshrrev_b32_e32 v6, 3, v1
	v_xor3_b32 v32, v34, v32, v35
	v_add_nc_u32_e32 v35, v29, v13
	v_alignbit_b32 v13, v16, v16, 17
	v_alignbit_b32 v44, v27, v27, 13
	;; [unrolled: 1-line block ×3, first 2 shown]
	v_add3_u32 v8, v8, v36, v32
	v_alignbit_b32 v36, v35, v35, 6
	v_alignbit_b32 v41, v35, v35, 11
	v_alignbit_b32 v42, v35, v35, 25
	v_alignbit_b32 v32, v27, v27, 2
	v_alignbit_b32 v34, v1, v1, 18
	v_xor_b32_e32 v30, v37, v30
	s_delay_alu instid0(VALU_DEP_4)
	v_xor3_b32 v36, v41, v36, v42
	v_lshrrev_b32_e32 v42, 10, v16
	v_bitop3_b32 v43, v35, v31, v28 bitop3:0xac
	v_alignbit_b32 v41, v16, v16, 19
	v_xor3_b32 v32, v44, v32, v45
	v_xad_u32 v14, v30, v14, v40
	s_delay_alu instid0(VALU_DEP_4) | instskip(NEXT) | instid1(VALU_DEP_4)
	v_add3_u32 v26, v8, v26, v43
	v_xor3_b32 v13, v41, v13, v42
	s_delay_alu instid0(VALU_DEP_2) | instskip(SKIP_1) | instid1(VALU_DEP_3)
	v_add3_u32 v26, v26, v36, 0xa81a664b
	v_xor_b32_e32 v46, v17, v27
	v_add3_u32 v7, v7, v40, v13
	v_xor_b32_e32 v33, v34, v33
	s_delay_alu instid0(VALU_DEP_3) | instskip(NEXT) | instid1(VALU_DEP_1)
	v_bfi_b32 v43, v46, v2, v27
	v_add3_u32 v29, v32, v43, v29
	v_add_nc_u32_e32 v32, v26, v2
	v_alignbit_b32 v2, v8, v8, 17
	s_delay_alu instid0(VALU_DEP_3) | instskip(NEXT) | instid1(VALU_DEP_3)
	v_alignbit_b32 v13, v29, v29, 2
	v_alignbit_b32 v30, v32, v32, 6
	;; [unrolled: 1-line block ×4, first 2 shown]
	v_bitop3_b32 v37, v32, v28, v35 bitop3:0xac
	v_alignbit_b32 v40, v29, v29, 13
	v_alignbit_b32 v41, v29, v29, 22
	v_xor_b32_e32 v42, v27, v29
	v_xor3_b32 v30, v34, v30, v36
	v_add3_u32 v31, v7, v31, v37
	v_alignbit_b32 v34, v8, v8, 19
	v_xor3_b32 v37, v40, v13, v41
	v_bfi_b32 v40, v42, v17, v29
	v_lshrrev_b32_e32 v36, 10, v8
	v_add3_u32 v30, v31, v30, 0xc24b8b70
	v_alignbit_b32 v31, v39, v39, 7
	s_delay_alu instid0(VALU_DEP_4) | instskip(NEXT) | instid1(VALU_DEP_4)
	v_add3_u32 v26, v37, v40, v26
	v_xor3_b32 v2, v34, v2, v36
	s_delay_alu instid0(VALU_DEP_2) | instskip(SKIP_1) | instid1(VALU_DEP_2)
	v_dual_add_nc_u32 v17, v30, v17 :: v_dual_bitop2_b32 v42, v29, v26 bitop3:0x14
	v_alignbit_b32 v40, v26, v26, 13
	v_alignbit_b32 v34, v17, v17, 6
	;; [unrolled: 1-line block ×5, first 2 shown]
	s_delay_alu instid0(VALU_DEP_2)
	v_xor3_b32 v34, v36, v34, v37
	v_lshrrev_b32_e32 v37, 10, v7
	v_xad_u32 v13, v33, v6, v38
	v_add3_u32 v6, v9, v38, v2
	v_bitop3_b32 v38, v17, v35, v32 bitop3:0xac
	v_alignbit_b32 v9, v26, v26, 2
	v_alignbit_b32 v2, v7, v7, 17
	;; [unrolled: 1-line block ×4, first 2 shown]
	v_add3_u32 v28, v6, v28, v38
	v_xor3_b32 v9, v40, v9, v41
	v_bfi_b32 v38, v42, v27, v26
	v_xor3_b32 v2, v36, v2, v37
	v_alignbit_b32 v36, v6, v6, 17
	v_add3_u32 v28, v28, v34, 0xc76c51a3
	v_alignbit_b32 v40, v10, v10, 7
	v_add3_u32 v9, v9, v38, v30
	v_add3_u32 v4, v4, v1, v2
	v_alignbit_b32 v30, v10, v10, 18
	v_add_nc_u32_e32 v27, v28, v27
	v_xor_b32_e32 v31, v33, v31
	v_xor_b32_e32 v45, v26, v9
	v_alignbit_b32 v2, v9, v9, 2
	v_alignbit_b32 v43, v9, v9, 13
	;; [unrolled: 1-line block ×5, first 2 shown]
	v_bitop3_b32 v42, v27, v32, v17 bitop3:0xac
	v_alignbit_b32 v44, v9, v9, 22
	v_dual_lshrrev_b32 v34, 3, v39 :: v_dual_bitop2_b32 v30, v30, v40 bitop3:0x14
	s_delay_alu instid0(VALU_DEP_4) | instskip(NEXT) | instid1(VALU_DEP_4)
	v_xor3_b32 v37, v38, v37, v41
	v_add3_u32 v35, v4, v35, v42
	v_alignbit_b32 v38, v6, v6, 19
	v_lshrrev_b32_e32 v41, 10, v6
	v_xor3_b32 v2, v43, v2, v44
	v_bfi_b32 v42, v45, v29, v9
	v_add3_u32 v35, v35, v37, 0xd192e819
	v_lshrrev_b32_e32 v37, 3, v10
	v_xor3_b32 v36, v38, v36, v41
	v_xad_u32 v31, v31, v34, v1
	v_add3_u32 v28, v2, v42, v28
	v_add_nc_u32_e32 v29, v35, v29
	s_delay_alu instid0(VALU_DEP_4) | instskip(SKIP_1) | instid1(VALU_DEP_4)
	v_add3_u32 v2, v15, v39, v36
	v_alignbit_b32 v15, v4, v4, 17
	v_alignbit_b32 v33, v28, v28, 2
	s_delay_alu instid0(VALU_DEP_4)
	v_alignbit_b32 v36, v29, v29, 6
	v_alignbit_b32 v38, v29, v29, 11
	;; [unrolled: 1-line block ×3, first 2 shown]
	v_bitop3_b32 v41, v29, v17, v27 bitop3:0xac
	v_alignbit_b32 v42, v28, v28, 13
	v_alignbit_b32 v43, v28, v28, 22
	v_xor_b32_e32 v44, v9, v28
	v_xor3_b32 v36, v38, v36, v40
	v_add3_u32 v32, v2, v32, v41
	v_alignbit_b32 v38, v4, v4, 19
	v_lshrrev_b32_e32 v40, 10, v4
	v_xor3_b32 v33, v42, v33, v43
	v_bfi_b32 v41, v44, v26, v28
	v_add3_u32 v32, v32, v36, 0xd6990624
	v_alignbit_b32 v34, v2, v2, 17
	v_xor3_b32 v1, v38, v15, v40
	s_delay_alu instid0(VALU_DEP_4) | instskip(NEXT) | instid1(VALU_DEP_4)
	v_add3_u32 v15, v33, v41, v35
	v_add_nc_u32_e32 v26, v32, v26
	v_xad_u32 v30, v30, v37, v39
	s_delay_alu instid0(VALU_DEP_4)
	v_add3_u32 v1, v5, v10, v1
	v_alignbit_b32 v33, v16, v16, 7
	v_alignbit_b32 v5, v15, v15, 2
	;; [unrolled: 1-line block ×5, first 2 shown]
	v_bitop3_b32 v38, v26, v27, v29 bitop3:0xac
	v_alignbit_b32 v39, v15, v15, 13
	v_alignbit_b32 v40, v15, v15, 22
	v_xor_b32_e32 v41, v28, v15
	v_xor3_b32 v35, v36, v35, v37
	v_add3_u32 v17, v1, v17, v38
	v_alignbit_b32 v36, v2, v2, 19
	v_lshrrev_b32_e32 v37, 10, v2
	v_xor3_b32 v5, v39, v5, v40
	v_bfi_b32 v38, v41, v9, v15
	v_add3_u32 v17, v17, v35, 0xf40e3585
	v_alignbit_b32 v35, v16, v16, 18
	v_xor3_b32 v34, v36, v34, v37
	v_lshrrev_b32_e32 v36, 3, v16
	v_add3_u32 v5, v5, v38, v32
	v_add_nc_u32_e32 v9, v17, v9
	v_alignbit_b32 v32, v8, v8, 7
	v_add3_u32 v0, v0, v16, v34
	v_alignbit_b32 v34, v1, v1, 17
	v_alignbit_b32 v37, v5, v5, 2
	;; [unrolled: 1-line block ×5, first 2 shown]
	v_bitop3_b32 v41, v9, v29, v26 bitop3:0xac
	v_alignbit_b32 v42, v5, v5, 13
	v_alignbit_b32 v43, v5, v5, 22
	v_xor_b32_e32 v44, v15, v5
	v_xor3_b32 v38, v39, v38, v40
	v_add3_u32 v27, v0, v27, v41
	v_alignbit_b32 v39, v1, v1, 19
	v_xor3_b32 v37, v42, v37, v43
	v_lshrrev_b32_e32 v42, 3, v8
	v_bfi_b32 v41, v44, v28, v5
	v_add3_u32 v27, v27, v38, 0x106aa070
	v_lshrrev_b32_e32 v40, 10, v1
	v_alignbit_b32 v38, v8, v8, 18
	v_xor_b32_e32 v33, v35, v33
	v_add3_u32 v17, v37, v41, v17
	v_add_nc_u32_e32 v28, v27, v28
	v_xor3_b32 v34, v39, v34, v40
	v_alignbit_b32 v35, v0, v0, 17
	s_delay_alu instid0(VALU_DEP_4) | instskip(NEXT) | instid1(VALU_DEP_4)
	v_alignbit_b32 v43, v17, v17, 13
	v_alignbit_b32 v37, v28, v28, 6
	s_delay_alu instid0(VALU_DEP_4)
	v_add3_u32 v3, v3, v8, v34
	v_alignbit_b32 v39, v28, v28, 11
	v_alignbit_b32 v40, v28, v28, 25
	v_bitop3_b32 v41, v28, v26, v9 bitop3:0xac
	v_alignbit_b32 v34, v17, v17, 2
	v_alignbit_b32 v44, v17, v17, 22
	v_xor_b32_e32 v45, v5, v17
	v_xor3_b32 v37, v39, v37, v40
	v_add3_u32 v29, v3, v29, v41
	v_alignbit_b32 v39, v0, v0, 19
	v_lshrrev_b32_e32 v40, 10, v0
	v_xor3_b32 v34, v43, v34, v44
	v_bfi_b32 v41, v45, v15, v17
	v_add3_u32 v29, v29, v37, 0x19a4c116
	v_xor_b32_e32 v32, v38, v32
	v_xor3_b32 v35, v39, v35, v40
	v_xad_u32 v10, v33, v36, v10
	v_add3_u32 v27, v34, v41, v27
	v_add_nc_u32_e32 v15, v29, v15
	v_xad_u32 v16, v32, v42, v16
	v_add3_u32 v12, v12, v7, v35
	v_alignbit_b32 v32, v3, v3, 17
	v_alignbit_b32 v33, v27, v27, 2
	;; [unrolled: 1-line block ×5, first 2 shown]
	v_bitop3_b32 v37, v15, v9, v28 bitop3:0xac
	v_alignbit_b32 v38, v27, v27, 13
	v_alignbit_b32 v39, v27, v27, 22
	s_delay_alu instid0(VALU_DEP_4) | instskip(NEXT) | instid1(VALU_DEP_4)
	v_xor3_b32 v34, v35, v34, v36
	v_add3_u32 v26, v12, v26, v37
	v_alignbit_b32 v35, v3, v3, 19
	v_lshrrev_b32_e32 v36, 10, v3
	v_xor3_b32 v33, v38, v33, v39
	v_alignbit_b32 v38, v7, v7, 18
	v_add3_u32 v26, v26, v34, 0x1e376c08
	v_xor_b32_e32 v40, v17, v27
	v_xor3_b32 v32, v35, v32, v36
	v_alignbit_b32 v35, v12, v12, 17
	v_alignbit_b32 v34, v7, v7, 7
	s_delay_alu instid0(VALU_DEP_4) | instskip(SKIP_2) | instid1(VALU_DEP_3)
	v_bfi_b32 v37, v40, v5, v27
	v_add_nc_u32_e32 v5, v26, v5
	v_add3_u32 v11, v11, v6, v32
	v_add3_u32 v29, v33, v37, v29
	s_delay_alu instid0(VALU_DEP_3)
	v_alignbit_b32 v36, v5, v5, 6
	v_alignbit_b32 v37, v5, v5, 11
	;; [unrolled: 1-line block ×3, first 2 shown]
	v_bitop3_b32 v40, v5, v28, v15 bitop3:0xac
	v_dual_lshrrev_b32 v33, 3, v7 :: v_dual_bitop2_b32 v43, v27, v29 bitop3:0x14
	v_alignbit_b32 v32, v29, v29, 2
	s_delay_alu instid0(VALU_DEP_4) | instskip(NEXT) | instid1(VALU_DEP_4)
	v_xor3_b32 v36, v37, v36, v39
	v_add3_u32 v9, v11, v9, v40
	v_alignbit_b32 v41, v29, v29, 13
	v_alignbit_b32 v42, v29, v29, 22
	;; [unrolled: 1-line block ×3, first 2 shown]
	v_bfi_b32 v40, v43, v17, v29
	v_add3_u32 v9, v9, v36, 0x2748774c
	v_lshrrev_b32_e32 v39, 10, v12
	v_xor3_b32 v32, v41, v32, v42
	v_alignbit_b32 v36, v6, v6, 7
	s_delay_alu instid0(VALU_DEP_4) | instskip(NEXT) | instid1(VALU_DEP_4)
	v_dual_add_nc_u32 v17, v9, v17 :: v_dual_bitop2_b32 v34, v38, v34 bitop3:0x14
	v_xor3_b32 v35, v37, v35, v39
	s_delay_alu instid0(VALU_DEP_4)
	v_add3_u32 v26, v32, v40, v26
	v_lshrrev_b32_e32 v32, 3, v6
	v_alignbit_b32 v37, v6, v6, 18
	v_alignbit_b32 v40, v17, v17, 6
	v_add3_u32 v14, v14, v4, v35
	v_alignbit_b32 v41, v17, v17, 11
	v_alignbit_b32 v42, v17, v17, 25
	v_bitop3_b32 v43, v17, v15, v5 bitop3:0xac
	v_alignbit_b32 v35, v11, v11, 17
	v_alignbit_b32 v39, v26, v26, 2
	;; [unrolled: 1-line block ×3, first 2 shown]
	v_xor3_b32 v40, v41, v40, v42
	v_add3_u32 v28, v14, v28, v43
	v_alignbit_b32 v45, v26, v26, 22
	v_alignbit_b32 v41, v11, v11, 19
	v_dual_lshrrev_b32 v42, 10, v11 :: v_dual_bitop2_b32 v36, v37, v36 bitop3:0x14
	s_delay_alu instid0(VALU_DEP_4) | instskip(SKIP_2) | instid1(VALU_DEP_4)
	v_add3_u32 v28, v28, v40, 0x34b0bcb5
	v_xor_b32_e32 v46, v29, v26
	v_xor3_b32 v39, v44, v39, v45
	v_xor3_b32 v35, v41, v35, v42
	s_delay_alu instid0(VALU_DEP_3) | instskip(SKIP_1) | instid1(VALU_DEP_3)
	v_bfi_b32 v43, v46, v27, v26
	v_add_nc_u32_e32 v27, v28, v27
	v_add3_u32 v13, v13, v2, v35
	s_delay_alu instid0(VALU_DEP_3) | instskip(NEXT) | instid1(VALU_DEP_3)
	v_add3_u32 v9, v39, v43, v9
	v_alignbit_b32 v35, v27, v27, 6
	v_alignbit_b32 v37, v27, v27, 11
	v_alignbit_b32 v38, v27, v27, 25
	v_bitop3_b32 v39, v27, v5, v17 bitop3:0xac
	v_xor_b32_e32 v42, v26, v9
	v_alignbit_b32 v40, v9, v9, 13
	v_alignbit_b32 v41, v9, v9, 22
	v_xor3_b32 v35, v37, v35, v38
	v_add3_u32 v15, v13, v15, v39
	v_alignbit_b32 v37, v14, v14, 19
	v_lshrrev_b32_e32 v38, 10, v14
	v_bfi_b32 v39, v42, v29, v9
	v_xad_u32 v7, v36, v32, v7
	v_add3_u32 v15, v15, v35, 0x391c0cb3
	s_delay_alu instid0(VALU_DEP_1) | instskip(SKIP_3) | instid1(VALU_DEP_4)
	v_add_nc_u32_e32 v29, v15, v29
	v_xad_u32 v8, v34, v33, v8
	v_alignbit_b32 v33, v14, v14, 17
	v_alignbit_b32 v34, v9, v9, 2
	;; [unrolled: 1-line block ×3, first 2 shown]
	s_delay_alu instid0(VALU_DEP_3) | instskip(NEXT) | instid1(VALU_DEP_3)
	v_xor3_b32 v32, v37, v33, v38
	v_xor3_b32 v34, v40, v34, v41
	v_alignbit_b32 v37, v29, v29, 11
	v_alignbit_b32 v38, v29, v29, 25
	;; [unrolled: 1-line block ×3, first 2 shown]
	v_add3_u32 v31, v31, v1, v32
	v_add3_u32 v28, v34, v39, v28
	v_bitop3_b32 v39, v29, v17, v27 bitop3:0xac
	v_xor3_b32 v36, v37, v36, v38
	v_alignbit_b32 v32, v13, v13, 17
	v_alignbit_b32 v37, v13, v13, 19
	;; [unrolled: 1-line block ×5, first 2 shown]
	v_dual_lshrrev_b32 v38, 10, v13 :: v_dual_bitop2_b32 v42, v9, v28 bitop3:0x14
	v_add3_u32 v5, v31, v5, v39
	v_alignbit_b32 v34, v4, v4, 18
	s_delay_alu instid0(VALU_DEP_4) | instskip(NEXT) | instid1(VALU_DEP_4)
	v_xor3_b32 v35, v40, v35, v41
	v_bfi_b32 v39, v42, v26, v28
	v_xor3_b32 v32, v37, v32, v38
	v_add3_u32 v5, v5, v36, 0x4ed8aa4a
	v_alignbit_b32 v37, v31, v31, 17
	v_alignbit_b32 v40, v2, v2, 7
	v_add3_u32 v15, v35, v39, v15
	v_add3_u32 v30, v30, v0, v32
	v_add_nc_u32_e32 v26, v5, v26
	v_alignbit_b32 v35, v2, v2, 18
	v_xor_b32_e32 v33, v34, v33
	v_xor_b32_e32 v45, v28, v15
	v_alignbit_b32 v32, v15, v15, 2
	v_alignbit_b32 v38, v26, v26, 6
	;; [unrolled: 1-line block ×4, first 2 shown]
	v_bitop3_b32 v42, v26, v27, v29 bitop3:0xac
	v_alignbit_b32 v43, v15, v15, 13
	v_alignbit_b32 v44, v15, v15, 22
	;; [unrolled: 1-line block ×3, first 2 shown]
	v_xor3_b32 v38, v39, v38, v41
	v_add3_u32 v17, v30, v17, v42
	v_alignbit_b32 v39, v31, v31, 19
	v_lshrrev_b32_e32 v41, 10, v31
	v_xor3_b32 v32, v43, v32, v44
	v_bfi_b32 v42, v45, v9, v15
	v_add3_u32 v17, v17, v38, 0x5b9cca4f
	v_lshrrev_b32_e32 v38, 3, v2
	v_xor3_b32 v37, v39, v37, v41
	v_lshrrev_b32_e32 v36, 3, v4
	v_add3_u32 v5, v32, v42, v5
	v_dual_add_nc_u32 v9, v17, v9 :: v_dual_bitop2_b32 v32, v35, v40 bitop3:0x14
	s_delay_alu instid0(VALU_DEP_4) | instskip(NEXT) | instid1(VALU_DEP_3)
	v_add3_u32 v10, v10, v3, v37
	v_alignbit_b32 v35, v5, v5, 2
	s_delay_alu instid0(VALU_DEP_3)
	v_alignbit_b32 v37, v9, v9, 6
	v_alignbit_b32 v39, v9, v9, 11
	;; [unrolled: 1-line block ×3, first 2 shown]
	v_bitop3_b32 v41, v9, v29, v26 bitop3:0xac
	v_alignbit_b32 v42, v5, v5, 13
	v_alignbit_b32 v43, v5, v5, 22
	v_xor_b32_e32 v44, v15, v5
	v_xor3_b32 v37, v39, v37, v40
	v_add3_u32 v27, v10, v27, v41
	v_alignbit_b32 v39, v30, v30, 19
	v_lshrrev_b32_e32 v40, 10, v30
	v_xor3_b32 v35, v42, v35, v43
	v_bfi_b32 v41, v44, v28, v5
	v_add3_u32 v27, v27, v37, 0x682e6ff3
	v_xad_u32 v4, v32, v38, v4
	v_xor3_b32 v32, v39, v34, v40
	v_xad_u32 v6, v33, v36, v6
	v_add3_u32 v17, v35, v41, v17
	v_add_nc_u32_e32 v28, v27, v28
	v_alignbit_b32 v33, v10, v10, 17
	v_add3_u32 v12, v16, v12, v32
	v_alignbit_b32 v34, v10, v10, 19
	v_xor_b32_e32 v40, v5, v17
	v_alignbit_b32 v32, v28, v28, 6
	v_alignbit_b32 v35, v28, v28, 11
	;; [unrolled: 1-line block ×3, first 2 shown]
	v_bitop3_b32 v37, v28, v26, v9 bitop3:0xac
	v_alignbit_b32 v16, v17, v17, 2
	v_alignbit_b32 v38, v17, v17, 13
	;; [unrolled: 1-line block ×3, first 2 shown]
	v_xor3_b32 v32, v35, v32, v36
	v_add3_u32 v29, v12, v29, v37
	v_lshrrev_b32_e32 v35, 10, v10
	v_bfi_b32 v37, v40, v15, v17
	v_xor3_b32 v16, v38, v16, v39
	v_alignbit_b32 v36, v1, v1, 7
	v_add3_u32 v29, v29, v32, 0x748f82ee
	v_xor3_b32 v32, v34, v33, v35
	v_lshrrev_b32_e32 v34, 3, v1
	v_add3_u32 v16, v16, v37, v27
	v_alignbit_b32 v27, v12, v12, 19
	v_add_nc_u32_e32 v15, v29, v15
	v_add3_u32 v8, v8, v11, v32
	v_alignbit_b32 v11, v12, v12, 17
	v_alignbit_b32 v32, v16, v16, 2
	v_alignbit_b32 v40, v16, v16, 13
	v_alignbit_b32 v35, v15, v15, 6
	v_alignbit_b32 v37, v15, v15, 11
	v_alignbit_b32 v38, v15, v15, 25
	v_bitop3_b32 v39, v15, v9, v28 bitop3:0xac
	v_alignbit_b32 v41, v16, v16, 22
	v_alignbit_b32 v33, v1, v1, 18
	s_delay_alu instid0(VALU_DEP_4) | instskip(NEXT) | instid1(VALU_DEP_4)
	v_xor3_b32 v35, v37, v35, v38
	v_add3_u32 v26, v8, v26, v39
	v_lshrrev_b32_e32 v37, 10, v12
	v_xor3_b32 v32, v40, v32, v41
	v_alignbit_b32 v39, v0, v0, 7
	s_delay_alu instid0(VALU_DEP_4) | instskip(SKIP_3) | instid1(VALU_DEP_3)
	v_add3_u32 v26, v26, v35, 0x78a5636f
	v_xor_b32_e32 v42, v17, v16
	v_xor3_b32 v11, v27, v11, v37
	v_alignbit_b32 v35, v0, v0, 18
	v_bfi_b32 v38, v42, v5, v16
	v_add_nc_u32_e32 v5, v26, v5
	s_delay_alu instid0(VALU_DEP_4) | instskip(NEXT) | instid1(VALU_DEP_3)
	v_add3_u32 v7, v7, v14, v11
	v_add3_u32 v27, v32, v38, v29
	s_delay_alu instid0(VALU_DEP_3)
	v_alignbit_b32 v37, v5, v5, 6
	v_alignbit_b32 v38, v5, v5, 11
	;; [unrolled: 1-line block ×3, first 2 shown]
	v_bitop3_b32 v41, v5, v28, v15 bitop3:0xac
	v_alignbit_b32 v29, v8, v8, 17
	v_alignbit_b32 v32, v8, v8, 19
	;; [unrolled: 1-line block ×3, first 2 shown]
	v_xor3_b32 v37, v38, v37, v40
	v_add3_u32 v9, v7, v9, v41
	v_alignbit_b32 v14, v27, v27, 13
	v_alignbit_b32 v42, v27, v27, 22
	v_xor_b32_e32 v43, v16, v27
	s_delay_alu instid0(VALU_DEP_4) | instskip(SKIP_1) | instid1(VALU_DEP_4)
	v_add3_u32 v9, v9, v37, 0x84c87814
	v_lshrrev_b32_e32 v8, 10, v8
	v_xor3_b32 v11, v14, v11, v42
	s_delay_alu instid0(VALU_DEP_4) | instskip(NEXT) | instid1(VALU_DEP_3)
	v_bfi_b32 v14, v43, v17, v27
	v_xor3_b32 v8, v32, v29, v8
	v_xor_b32_e32 v32, v33, v36
	s_delay_alu instid0(VALU_DEP_3)
	v_add3_u32 v11, v11, v14, v26
	v_lshrrev_b32_e32 v29, 3, v0
	v_alignbit_b32 v14, v7, v7, 19
	v_add3_u32 v6, v6, v13, v8
	v_add_nc_u32_e32 v13, v9, v17
	v_alignbit_b32 v17, v11, v11, 2
	v_alignbit_b32 v26, v11, v11, 13
	;; [unrolled: 1-line block ×7, first 2 shown]
	v_bitop3_b32 v40, v13, v15, v5 bitop3:0xac
	v_xor_b32_e32 v41, v27, v11
	v_lshrrev_b32_e32 v7, 10, v7
	v_xor3_b32 v17, v26, v17, v33
	v_xor3_b32 v26, v37, v36, v38
	v_add3_u32 v28, v6, v28, v40
	v_bfi_b32 v33, v41, v16, v11
	v_xor3_b32 v7, v14, v8, v7
	v_xad_u32 v2, v32, v34, v2
	v_alignbit_b32 v14, v6, v6, 17
	v_add3_u32 v8, v28, v26, 0x8cc70208
	v_xor_b32_e32 v35, v35, v39
	v_add3_u32 v9, v17, v33, v9
	v_add3_u32 v4, v4, v31, v7
	s_delay_alu instid0(VALU_DEP_4) | instskip(NEXT) | instid1(VALU_DEP_4)
	v_add_nc_u32_e32 v7, v8, v16
	v_xad_u32 v1, v35, v29, v1
	s_delay_alu instid0(VALU_DEP_4)
	v_alignbit_b32 v16, v9, v9, 2
	v_alignbit_b32 v17, v9, v9, 13
	;; [unrolled: 1-line block ×3, first 2 shown]
	v_xor_b32_e32 v28, v11, v9
	v_alignbit_b32 v29, v7, v7, 6
	v_alignbit_b32 v31, v7, v7, 11
	;; [unrolled: 1-line block ×3, first 2 shown]
	v_bitop3_b32 v33, v7, v5, v13 bitop3:0xac
	v_xor3_b32 v16, v17, v16, v26
	v_alignbit_b32 v26, v6, v6, 19
	v_lshrrev_b32_e32 v6, 10, v6
	v_bfi_b32 v17, v28, v27, v9
	v_xor3_b32 v28, v31, v29, v32
	v_add3_u32 v15, v4, v15, v33
	v_alignbit_b32 v32, v4, v4, 19
	v_xor3_b32 v6, v26, v14, v6
	v_add3_u32 v8, v16, v17, v8
	v_alignbit_b32 v16, v3, v3, 7
	v_add3_u32 v15, v15, v28, 0x90befffa
	v_alignbit_b32 v17, v3, v3, 18
	;; [unrolled: 2-line block ×3, first 2 shown]
	v_alignbit_b32 v26, v8, v8, 13
	v_alignbit_b32 v28, v8, v8, 22
	v_dual_add_nc_u32 v27, v15, v27 :: v_dual_bitop2_b32 v29, v9, v8 bitop3:0x14
	v_alignbit_b32 v6, v4, v4, 17
	v_dual_lshrrev_b32 v4, 10, v4 :: v_dual_lshrrev_b32 v3, 3, v3
	s_delay_alu instid0(VALU_DEP_4) | instskip(NEXT) | instid1(VALU_DEP_4)
	v_xor3_b32 v14, v26, v14, v28
	v_alignbit_b32 v26, v27, v27, 6
	v_alignbit_b32 v28, v27, v27, 11
	;; [unrolled: 1-line block ×3, first 2 shown]
	v_bitop3_b32 v31, v27, v13, v7 bitop3:0xac
	v_bfi_b32 v29, v29, v11, v8
	v_xor3_b32 v4, v32, v6, v4
	v_add_nc_u32_e32 v22, v27, v22
	v_xor3_b32 v26, v28, v26, v30
	v_add3_u32 v5, v2, v5, v31
	v_add3_u32 v14, v14, v29, v15
	v_xor_b32_e32 v15, v17, v16
	v_add3_u32 v1, v1, v10, v4
	v_alignbit_b32 v28, v2, v2, 17
	v_add3_u32 v5, v5, v26, 0xa4506ceb
	v_alignbit_b32 v6, v14, v14, 2
	v_alignbit_b32 v16, v14, v14, 13
	;; [unrolled: 1-line block ×3, first 2 shown]
	s_delay_alu instid0(VALU_DEP_4) | instskip(SKIP_1) | instid1(VALU_DEP_3)
	v_dual_add_nc_u32 v11, v5, v11 :: v_dual_bitop2_b32 v26, v8, v14 bitop3:0x14
	v_add_nc_u32_e32 v20, v14, v20
	v_xor3_b32 v4, v16, v6, v17
	s_delay_alu instid0(VALU_DEP_3) | instskip(NEXT) | instid1(VALU_DEP_4)
	v_bfi_b32 v6, v26, v9, v14
	v_alignbit_b32 v10, v11, v11, 6
	v_alignbit_b32 v16, v11, v11, 11
	;; [unrolled: 1-line block ×3, first 2 shown]
	v_bitop3_b32 v26, v11, v7, v27 bitop3:0xac
	v_add3_u32 v4, v4, v6, v5
	v_alignbit_b32 v5, v2, v2, 19
	v_lshrrev_b32_e32 v2, 10, v2
	v_xor3_b32 v6, v16, v10, v17
	v_add3_u32 v1, v1, v13, v26
	v_alignbit_b32 v10, v4, v4, 2
	v_alignbit_b32 v13, v4, v4, 13
	;; [unrolled: 1-line block ×3, first 2 shown]
	v_xad_u32 v0, v15, v3, v0
	v_add3_u32 v1, v1, v6, 0xbef9a3f7
	v_xor_b32_e32 v17, v14, v4
	v_xor3_b32 v2, v5, v28, v2
	v_xor3_b32 v3, v13, v10, v16
	v_dual_add_nc_u32 v21, v4, v21 :: v_dual_add_nc_u32 v23, v11, v23
	v_add_nc_u32_e32 v6, v1, v9
	v_bfi_b32 v5, v17, v8, v4
	v_add3_u32 v0, v0, v12, v2
	s_delay_alu instid0(VALU_DEP_3) | instskip(NEXT) | instid1(VALU_DEP_3)
	v_alignbit_b32 v2, v6, v6, 6
	v_add3_u32 v1, v3, v5, v1
	v_alignbit_b32 v3, v6, v6, 11
	v_alignbit_b32 v5, v6, v6, 25
	v_bitop3_b32 v9, v6, v27, v11 bitop3:0xac
	s_delay_alu instid0(VALU_DEP_4)
	v_dual_add_nc_u32 v18, v6, v18 :: v_dual_bitop2_b32 v12, v4, v1 bitop3:0x14
	v_alignbit_b32 v10, v1, v1, 2
	v_alignbit_b32 v13, v1, v1, 13
	;; [unrolled: 1-line block ×3, first 2 shown]
	v_xor3_b32 v2, v3, v2, v5
	v_add3_u32 v0, v0, v7, v9
	v_bfi_b32 v3, v12, v14, v1
	v_add_nc_u32_e32 v24, v1, v24
	v_xor3_b32 v5, v13, v10, v15
	s_delay_alu instid0(VALU_DEP_4) | instskip(NEXT) | instid1(VALU_DEP_4)
	v_add3_u32 v0, v0, v2, 0xc67178f2
	v_add_nc_u32_e32 v2, v3, v25
	s_delay_alu instid0(VALU_DEP_2) | instskip(NEXT) | instid1(VALU_DEP_2)
	v_add3_u32 v19, v8, v19, v0
	v_add3_u32 v25, v2, v5, v0
.LBB0_3:
	s_or_b32 exec_lo, exec_lo, s2
	s_delay_alu instid0(VALU_DEP_1)
	v_add_nc_u32_e32 v0, 0x98c7e2a2, v25
	v_alignbit_b32 v29, v18, v18, 7
	s_clause 0x1
	s_load_b64 s[2:3], s[0:1], 0x60
	s_load_b128 s[4:7], s[0:1], 0x38
	s_mov_b64 s[36:37], 0
	v_lshrrev_b32_e32 v16, 3, v24
	v_alignbit_b32 v1, v0, v0, 6
	v_alignbit_b32 v2, v0, v0, 11
	;; [unrolled: 1-line block ×3, first 2 shown]
	v_bitop3_b32 v4, v0, s33, 0xca0b3af3 bitop3:0x6c
	s_delay_alu instid0(VALU_DEP_2) | instskip(SKIP_1) | instid1(VALU_DEP_2)
	v_xor3_b32 v1, v2, v1, v3
	v_add_nc_u32_e32 v2, 0xfc08884d, v25
	v_add3_u32 v1, v24, v4, v1
	s_delay_alu instid0(VALU_DEP_2)
	v_alignbit_b32 v4, v2, v2, 2
	v_alignbit_b32 v5, v2, v2, 13
	;; [unrolled: 1-line block ×3, first 2 shown]
	v_and_b32_e32 v7, 0xd16e48e2, v2
	v_add_nc_u32_e32 v3, 0xcd2a11ae, v1
	s_wait_kmcnt 0x0
	s_add_co_i32 s40, s4, 0x428a2f98
	v_xor_b32_e32 v4, v5, v4
	s_add_co_i32 s41, s5, 0x71374491
	s_add_co_i32 s42, s6, 0xb5c0fbcf
	v_alignbit_b32 v8, v3, v3, 6
	v_alignbit_b32 v9, v3, v3, 11
	;; [unrolled: 1-line block ×3, first 2 shown]
	v_bitop3_b32 v5, v3, 0x510e527f, v0 bitop3:0xac
	v_xad_u32 v4, v4, v6, v7
	s_add_co_i32 s43, s7, 0xe9b5dba5
	s_delay_alu instid0(VALU_DEP_3) | instskip(NEXT) | instid1(VALU_DEP_2)
	v_xor3_b32 v8, v9, v8, v10
	v_add3_u32 v1, v1, v4, 0xbabcc441
	s_delay_alu instid0(VALU_DEP_2) | instskip(NEXT) | instid1(VALU_DEP_2)
	v_add3_u32 v5, v21, v5, v8
	v_alignbit_b32 v6, v1, v1, 2
	v_alignbit_b32 v7, v1, v1, 13
	v_xor_b32_e32 v9, v2, v1
	s_delay_alu instid0(VALU_DEP_4) | instskip(SKIP_1) | instid1(VALU_DEP_4)
	v_add_nc_u32_e32 v4, 0xc2e12e0, v5
	v_alignbit_b32 v8, v1, v1, 22
	v_xor_b32_e32 v6, v7, v6
	s_delay_alu instid0(VALU_DEP_4) | instskip(NEXT) | instid1(VALU_DEP_4)
	v_bfi_b32 v7, v9, 0x6a09e667, v1
	v_alignbit_b32 v10, v4, v4, 6
	v_alignbit_b32 v11, v4, v4, 11
	v_alignbit_b32 v12, v4, v4, 25
	v_bitop3_b32 v0, v4, v0, v3 bitop3:0xac
	v_xad_u32 v6, v6, v8, v7
	s_delay_alu instid0(VALU_DEP_3) | instskip(NEXT) | instid1(VALU_DEP_2)
	v_xor3_b32 v9, v11, v10, v12
	v_add3_u32 v5, v5, v6, 0x50c6645b
	s_delay_alu instid0(VALU_DEP_2) | instskip(NEXT) | instid1(VALU_DEP_2)
	v_add3_u32 v0, v20, v0, v9
	v_alignbit_b32 v7, v5, v5, 2
	v_alignbit_b32 v8, v5, v5, 13
	v_xor_b32_e32 v9, v1, v5
	s_delay_alu instid0(VALU_DEP_4) | instskip(SKIP_1) | instid1(VALU_DEP_4)
	v_add_nc_u32_e32 v6, 0xa4ce148b, v0
	v_alignbit_b32 v14, v5, v5, 22
	v_xor_b32_e32 v7, v8, v7
	s_delay_alu instid0(VALU_DEP_4) | instskip(NEXT) | instid1(VALU_DEP_4)
	v_bfi_b32 v8, v9, v2, v5
	v_alignbit_b32 v10, v6, v6, 6
	v_alignbit_b32 v11, v6, v6, 11
	;; [unrolled: 1-line block ×3, first 2 shown]
	v_bitop3_b32 v13, v6, v3, v4 bitop3:0xac
	v_xad_u32 v7, v7, v14, v8
	s_delay_alu instid0(VALU_DEP_3) | instskip(NEXT) | instid1(VALU_DEP_3)
	v_xor3_b32 v9, v11, v10, v12
	v_add3_u32 v10, v25, v19, v13
	s_delay_alu instid0(VALU_DEP_3) | instskip(NEXT) | instid1(VALU_DEP_2)
	v_add3_u32 v0, v0, v7, 0x3ac42e24
	v_add3_u32 v8, v10, v9, 0xd21ea4fd
	s_delay_alu instid0(VALU_DEP_2) | instskip(SKIP_2) | instid1(VALU_DEP_4)
	v_alignbit_b32 v7, v0, v0, 2
	v_alignbit_b32 v13, v0, v0, 13
	;; [unrolled: 1-line block ×3, first 2 shown]
	v_dual_add_nc_u32 v2, v8, v2 :: v_dual_bitop2_b32 v15, v5, v0 bitop3:0x14
	s_delay_alu instid0(VALU_DEP_2) | instskip(NEXT) | instid1(VALU_DEP_2)
	v_xor3_b32 v7, v13, v7, v14
	v_alignbit_b32 v9, v2, v2, 6
	v_alignbit_b32 v10, v2, v2, 11
	;; [unrolled: 1-line block ×3, first 2 shown]
	v_bitop3_b32 v12, v2, v4, v6 bitop3:0xac
	s_delay_alu instid0(VALU_DEP_2) | instskip(NEXT) | instid1(VALU_DEP_2)
	v_xor3_b32 v9, v10, v9, v11
	v_add3_u32 v3, v18, v3, v12
	v_bfi_b32 v10, v15, v1, v0
	s_delay_alu instid0(VALU_DEP_2) | instskip(NEXT) | instid1(VALU_DEP_2)
	v_add3_u32 v3, v3, v9, 0x59f111f1
	v_add3_u32 v7, v7, v10, v8
	s_delay_alu instid0(VALU_DEP_2) | instskip(NEXT) | instid1(VALU_DEP_2)
	v_add_nc_u32_e32 v1, v3, v1
	v_alignbit_b32 v8, v7, v7, 2
	v_alignbit_b32 v13, v7, v7, 13
	v_alignbit_b32 v14, v7, v7, 22
	v_xor_b32_e32 v15, v0, v7
	v_alignbit_b32 v9, v1, v1, 6
	v_alignbit_b32 v10, v1, v1, 11
	v_alignbit_b32 v11, v1, v1, 25
	v_bitop3_b32 v12, v1, v6, v2 bitop3:0xac
	v_xor3_b32 v8, v13, v8, v14
	s_delay_alu instid0(VALU_DEP_3) | instskip(NEXT) | instid1(VALU_DEP_3)
	v_xor3_b32 v9, v10, v9, v11
	v_add3_u32 v4, v23, v4, v12
	v_bfi_b32 v10, v15, v5, v7
	s_delay_alu instid0(VALU_DEP_2) | instskip(NEXT) | instid1(VALU_DEP_2)
	v_add3_u32 v4, v4, v9, 0x923f82a4
	v_add3_u32 v3, v8, v10, v3
	s_delay_alu instid0(VALU_DEP_2) | instskip(NEXT) | instid1(VALU_DEP_2)
	v_add_nc_u32_e32 v5, v4, v5
	v_alignbit_b32 v8, v3, v3, 2
	v_alignbit_b32 v13, v3, v3, 13
	v_alignbit_b32 v14, v3, v3, 22
	v_xor_b32_e32 v15, v7, v3
	v_alignbit_b32 v9, v5, v5, 6
	v_alignbit_b32 v10, v5, v5, 11
	v_alignbit_b32 v11, v5, v5, 25
	v_bitop3_b32 v12, v5, v2, v1 bitop3:0xac
	v_xor3_b32 v8, v13, v8, v14
	s_delay_alu instid0(VALU_DEP_3) | instskip(NEXT) | instid1(VALU_DEP_3)
	;; [unrolled: 18-line block ×3, first 2 shown]
	v_xor3_b32 v9, v10, v9, v11
	v_xad_u32 v2, v12, v1, v2
	v_bfi_b32 v10, v15, v7, v4
	s_delay_alu instid0(VALU_DEP_2) | instskip(NEXT) | instid1(VALU_DEP_2)
	v_add3_u32 v2, v2, v9, 0x5807aa98
	v_add3_u32 v6, v8, v10, v6
	s_delay_alu instid0(VALU_DEP_2) | instskip(NEXT) | instid1(VALU_DEP_2)
	v_add_nc_u32_e32 v7, v2, v7
	v_alignbit_b32 v8, v6, v6, 2
	v_alignbit_b32 v13, v6, v6, 13
	v_alignbit_b32 v14, v6, v6, 22
	v_xor_b32_e32 v15, v4, v6
	v_alignbit_b32 v9, v7, v7, 6
	v_alignbit_b32 v10, v7, v7, 11
	v_alignbit_b32 v11, v7, v7, 25
	v_bitop3_b32 v12, v7, v0, v5 bitop3:0x60
	v_xor3_b32 v8, v13, v8, v14
	s_delay_alu instid0(VALU_DEP_3) | instskip(NEXT) | instid1(VALU_DEP_3)
	v_xor3_b32 v9, v10, v9, v11
	v_xad_u32 v1, v12, v5, v1
	v_bfi_b32 v10, v15, v3, v6
	s_delay_alu instid0(VALU_DEP_2) | instskip(NEXT) | instid1(VALU_DEP_2)
	v_add3_u32 v1, v1, v9, 0x12835b01
	v_add3_u32 v2, v8, v10, v2
	s_delay_alu instid0(VALU_DEP_2) | instskip(NEXT) | instid1(VALU_DEP_2)
	v_add_nc_u32_e32 v3, v1, v3
	v_alignbit_b32 v8, v2, v2, 2
	v_alignbit_b32 v13, v2, v2, 13
	v_alignbit_b32 v14, v2, v2, 22
	v_xor_b32_e32 v15, v6, v2
	v_alignbit_b32 v9, v3, v3, 6
	v_alignbit_b32 v10, v3, v3, 11
	v_alignbit_b32 v11, v3, v3, 25
	v_bitop3_b32 v12, v3, v7, v0 bitop3:0x60
	v_xor3_b32 v8, v13, v8, v14
	s_delay_alu instid0(VALU_DEP_3) | instskip(NEXT) | instid1(VALU_DEP_3)
	;; [unrolled: 18-line block ×3, first 2 shown]
	v_xor3_b32 v9, v10, v9, v11
	v_xad_u32 v0, v12, v7, v0
	v_bfi_b32 v10, v15, v6, v1
	v_alignbit_b32 v11, v24, v24, 18
	s_delay_alu instid0(VALU_DEP_3) | instskip(NEXT) | instid1(VALU_DEP_3)
	v_add3_u32 v0, v0, v9, 0x550c7dc3
	v_add3_u32 v5, v8, v10, v5
	v_alignbit_b32 v9, v24, v24, 7
	v_alignbit_b32 v10, v21, v21, 18
	s_delay_alu instid0(VALU_DEP_4) | instskip(NEXT) | instid1(VALU_DEP_4)
	v_add_nc_u32_e32 v12, v0, v6
	v_alignbit_b32 v8, v5, v5, 2
	v_alignbit_b32 v26, v5, v5, 13
	;; [unrolled: 1-line block ×3, first 2 shown]
	v_xor_b32_e32 v28, v1, v5
	v_alignbit_b32 v13, v12, v12, 6
	v_alignbit_b32 v14, v12, v12, 11
	;; [unrolled: 1-line block ×3, first 2 shown]
	v_bitop3_b32 v17, v12, v4, v3 bitop3:0x60
	v_xor3_b32 v8, v26, v8, v27
	v_alignbit_b32 v6, v21, v21, 7
	v_lshrrev_b32_e32 v26, 3, v20
	v_xor3_b32 v13, v14, v13, v15
	v_xad_u32 v7, v17, v3, v7
	v_bfi_b32 v15, v28, v2, v5
	v_alignbit_b32 v14, v20, v20, 7
	v_alignbit_b32 v27, v19, v19, 7
	v_lshrrev_b32_e32 v17, 3, v21
	v_add3_u32 v7, v7, v13, 0x72be5d74
	v_add3_u32 v0, v8, v15, v0
	v_xor_b32_e32 v9, v11, v9
	v_alignbit_b32 v13, v20, v20, 18
	s_delay_alu instid0(VALU_DEP_4) | instskip(NEXT) | instid1(VALU_DEP_4)
	v_dual_lshrrev_b32 v15, 3, v19 :: v_dual_add_nc_u32 v28, v7, v2
	v_alignbit_b32 v8, v0, v0, 2
	v_alignbit_b32 v34, v0, v0, 13
	;; [unrolled: 1-line block ×3, first 2 shown]
	v_xor_b32_e32 v36, v5, v0
	v_alignbit_b32 v30, v28, v28, 6
	v_alignbit_b32 v31, v28, v28, 11
	;; [unrolled: 1-line block ×3, first 2 shown]
	v_bitop3_b32 v33, v28, v12, v4 bitop3:0x60
	v_xor3_b32 v8, v34, v8, v35
	v_alignbit_b32 v2, v19, v19, 18
	v_xad_u32 v9, v9, v16, v25
	v_xor3_b32 v30, v31, v30, v32
	v_xad_u32 v3, v33, v4, v3
	v_lshrrev_b32_e32 v32, 3, v18
	v_bfi_b32 v33, v36, v1, v0
	v_xor_b32_e32 v11, v10, v6
	v_xor3_b32 v14, v13, v14, v26
	v_add3_u32 v3, v3, v30, 0x80deb1fe
	v_lshrrev_b32_e32 v35, 3, v23
	v_add3_u32 v33, v8, v33, v7
	v_lshrrev_b32_e32 v36, 3, v22
	v_alignbit_b32 v7, v22, v22, 18
	v_add_nc_u32_e32 v8, v3, v1
	v_alignbit_b32 v1, v22, v22, 7
	v_alignbit_b32 v37, v33, v33, 2
	;; [unrolled: 1-line block ×7, first 2 shown]
	v_bitop3_b32 v41, v8, v28, v12 bitop3:0x60
	v_xor_b32_e32 v44, v0, v33
	v_xor3_b32 v10, v42, v37, v43
	v_xor3_b32 v13, v2, v27, v15
	;; [unrolled: 1-line block ×3, first 2 shown]
	v_xad_u32 v4, v41, v12, v4
	v_bfi_b32 v37, v44, v5, v33
	v_xor_b32_e32 v1, v7, v1
	v_alignbit_b32 v31, v18, v18, 18
	v_alignbit_b32 v30, v23, v23, 7
	v_add3_u32 v38, v4, v38, 0x9bdc06a7
	v_add3_u32 v15, v10, v37, v3
	v_alignbit_b32 v34, v23, v23, 18
	v_xor3_b32 v6, v31, v29, v32
	s_delay_alu instid0(VALU_DEP_3) | instskip(SKIP_3) | instid1(VALU_DEP_4)
	v_dual_add_nc_u32 v10, v38, v5 :: v_dual_bitop2_b32 v27, v33, v15 bitop3:0x14
	v_alignbit_b32 v3, v15, v15, 2
	v_alignbit_b32 v25, v15, v15, 13
	;; [unrolled: 1-line block ×6, first 2 shown]
	v_bitop3_b32 v16, v10, v8, v28 bitop3:0x60
	v_xor3_b32 v5, v34, v30, v35
	s_delay_alu instid0(VALU_DEP_3) | instskip(NEXT) | instid1(VALU_DEP_3)
	v_xor3_b32 v7, v4, v2, v7
	v_xad_u32 v12, v16, v28, v12
	v_xad_u32 v4, v1, v36, v23
	v_xor3_b32 v1, v25, v3, v26
	v_bfi_b32 v3, v27, v0, v15
	v_alignbit_b32 v23, v9, v9, 19
	v_add3_u32 v12, v12, v7, 0xc19bf274
	s_delay_alu instid0(VALU_DEP_3) | instskip(SKIP_2) | instid1(VALU_DEP_4)
	v_add3_u32 v16, v1, v3, v38
	v_lshrrev_b32_e32 v1, 10, v9
	v_xad_u32 v2, v11, v17, v24
	v_dual_add_nc_u32 v11, v12, v0 :: v_dual_add_nc_u32 v3, v9, v22
	s_delay_alu instid0(VALU_DEP_4) | instskip(SKIP_2) | instid1(VALU_DEP_4)
	v_alignbit_b32 v22, v16, v16, 2
	v_alignbit_b32 v29, v16, v16, 13
	;; [unrolled: 1-line block ×6, first 2 shown]
	v_bitop3_b32 v27, v11, v8, v10 bitop3:0xac
	v_xor_b32_e32 v31, v15, v16
	v_alignbit_b32 v17, v9, v9, 17
	v_add_nc_u32_e32 v7, 0xa00000, v2
	v_xor3_b32 v25, v25, v0, v26
	v_add3_u32 v26, v9, v28, v27
	v_lshrrev_b32_e32 v0, 3, v9
	v_xor3_b32 v28, v29, v22, v30
	v_bfi_b32 v29, v31, v33, v16
	v_xor3_b32 v23, v23, v17, v1
	v_add3_u32 v22, v26, v25, 0xe49b69c1
	v_alignbit_b32 v24, v9, v9, 7
	v_alignbit_b32 v27, v9, v9, 18
	v_add3_u32 v17, v28, v29, v12
	s_delay_alu instid0(VALU_DEP_4)
	v_dual_lshrrev_b32 v28, 10, v7 :: v_dual_add_nc_u32 v12, v22, v33
	v_alignbit_b32 v25, v7, v7, 17
	v_alignbit_b32 v26, v7, v7, 19
	v_xor_b32_e32 v1, v27, v24
	v_alignbit_b32 v24, v7, v7, 7
	v_alignbit_b32 v29, v12, v12, 6
	;; [unrolled: 1-line block ×4, first 2 shown]
	v_bitop3_b32 v32, v12, v10, v11 bitop3:0xac
	v_alignbit_b32 v27, v17, v17, 2
	v_alignbit_b32 v33, v17, v17, 13
	;; [unrolled: 1-line block ×3, first 2 shown]
	v_xor3_b32 v29, v30, v29, v31
	v_add3_u32 v8, v2, v8, v32
	v_alignbit_b32 v30, v7, v7, 18
	v_add3_u32 v14, v14, v21, v23
	v_xor_b32_e32 v35, v16, v17
	v_xor3_b32 v27, v33, v27, v34
	v_add3_u32 v8, v8, v29, 0xf05e4786
	v_xor3_b32 v25, v26, v25, v28
	v_xor_b32_e32 v21, v30, v24
	v_bfi_b32 v32, v35, v15, v17
	v_lshrrev_b32_e32 v31, 3, v7
	v_add_nc_u32_e32 v15, v8, v15
	v_add3_u32 v13, v13, v20, v25
	v_alignbit_b32 v20, v14, v14, 17
	v_add3_u32 v22, v27, v32, v22
	v_xad_u32 v21, v21, v31, v9
	v_alignbit_b32 v25, v15, v15, 6
	v_alignbit_b32 v26, v15, v15, 11
	;; [unrolled: 1-line block ×3, first 2 shown]
	v_bitop3_b32 v28, v15, v11, v12 bitop3:0xac
	v_alignbit_b32 v24, v22, v22, 2
	v_alignbit_b32 v29, v22, v22, 13
	v_alignbit_b32 v30, v22, v22, 22
	v_xor3_b32 v25, v26, v25, v27
	v_add3_u32 v10, v14, v10, v28
	v_alignbit_b32 v23, v14, v14, 19
	v_lshrrev_b32_e32 v26, 10, v14
	v_xor3_b32 v9, v29, v24, v30
	v_alignbit_b32 v27, v14, v14, 18
	v_add3_u32 v10, v10, v25, 0xfc19dc6
	v_xor_b32_e32 v32, v17, v22
	v_alignbit_b32 v25, v14, v14, 7
	s_delay_alu instid0(VALU_DEP_2) | instskip(NEXT) | instid1(VALU_DEP_1)
	v_bfi_b32 v24, v32, v16, v22
	v_add3_u32 v8, v9, v24, v8
	v_add_nc_u32_e32 v9, v10, v16
	v_xor3_b32 v16, v23, v20, v26
	v_lshrrev_b32_e32 v28, 3, v14
	v_alignbit_b32 v20, v13, v13, 17
	v_alignbit_b32 v24, v8, v8, 2
	;; [unrolled: 1-line block ×5, first 2 shown]
	v_bitop3_b32 v31, v9, v12, v15 bitop3:0xac
	v_alignbit_b32 v32, v8, v8, 13
	v_alignbit_b32 v33, v8, v8, 22
	v_xor_b32_e32 v34, v22, v8
	v_xor3_b32 v26, v29, v26, v30
	v_add3_u32 v11, v13, v11, v31
	v_add3_u32 v6, v6, v19, v16
	v_xor_b32_e32 v25, v27, v25
	v_xor3_b32 v24, v32, v24, v33
	v_bfi_b32 v27, v34, v17, v8
	v_add3_u32 v11, v11, v26, 0x240ca1cc
	v_alignbit_b32 v23, v13, v13, 19
	v_dual_lshrrev_b32 v29, 10, v13 :: v_dual_lshrrev_b32 v31, 3, v13
	s_delay_alu instid0(VALU_DEP_4) | instskip(NEXT) | instid1(VALU_DEP_4)
	v_add3_u32 v10, v24, v27, v10
	v_add_nc_u32_e32 v17, v11, v17
	v_xad_u32 v24, v25, v28, v7
	s_delay_alu instid0(VALU_DEP_4)
	v_xor3_b32 v16, v23, v20, v29
	v_alignbit_b32 v26, v13, v13, 7
	v_xor_b32_e32 v29, v8, v10
	v_alignbit_b32 v19, v17, v17, 6
	v_alignbit_b32 v20, v17, v17, 11
	;; [unrolled: 1-line block ×3, first 2 shown]
	v_bitop3_b32 v25, v17, v15, v9 bitop3:0xac
	v_alignbit_b32 v7, v10, v10, 2
	v_alignbit_b32 v27, v10, v10, 13
	;; [unrolled: 1-line block ×3, first 2 shown]
	v_xor3_b32 v19, v20, v19, v23
	v_add3_u32 v12, v6, v12, v25
	v_add3_u32 v23, v5, v18, v16
	v_alignbit_b32 v30, v13, v13, 18
	v_xor3_b32 v5, v27, v7, v28
	v_bfi_b32 v7, v29, v22, v10
	v_add3_u32 v12, v12, v19, 0x2de92c6f
	v_alignbit_b32 v16, v6, v6, 17
	v_xor_b32_e32 v20, v30, v26
	v_alignbit_b32 v18, v6, v6, 19
	v_add3_u32 v5, v5, v7, v11
	v_add_nc_u32_e32 v7, v12, v22
	v_lshrrev_b32_e32 v19, 10, v6
	v_alignbit_b32 v11, v6, v6, 7
	s_delay_alu instid0(VALU_DEP_4) | instskip(NEXT) | instid1(VALU_DEP_4)
	v_xor_b32_e32 v32, v10, v5
	v_alignbit_b32 v26, v7, v7, 6
	v_alignbit_b32 v27, v7, v7, 11
	;; [unrolled: 1-line block ×3, first 2 shown]
	v_bitop3_b32 v29, v7, v9, v17 bitop3:0xac
	v_alignbit_b32 v22, v5, v5, 2
	v_alignbit_b32 v30, v5, v5, 13
	v_xor3_b32 v16, v18, v16, v19
	v_xor3_b32 v26, v27, v26, v28
	v_add3_u32 v15, v23, v15, v29
	v_lshrrev_b32_e32 v28, 10, v23
	v_xad_u32 v25, v20, v31, v14
	v_alignbit_b32 v31, v5, v5, 22
	v_alignbit_b32 v20, v6, v6, 18
	v_add3_u32 v15, v15, v26, 0x4a7484aa
	v_lshrrev_b32_e32 v27, 3, v6
	v_bfi_b32 v19, v32, v8, v5
	v_xor3_b32 v18, v30, v22, v31
	v_add3_u32 v29, v4, v16, 0x100
	v_dual_add_nc_u32 v8, v15, v8 :: v_dual_bitop2_b32 v11, v20, v11 bitop3:0x14
	v_alignbit_b32 v22, v23, v23, 17
	s_delay_alu instid0(VALU_DEP_4) | instskip(SKIP_1) | instid1(VALU_DEP_4)
	v_add3_u32 v18, v18, v19, v12
	v_alignbit_b32 v26, v23, v23, 19
	v_alignbit_b32 v12, v8, v8, 6
	;; [unrolled: 1-line block ×4, first 2 shown]
	v_bitop3_b32 v30, v8, v17, v7 bitop3:0xac
	v_alignbit_b32 v4, v18, v18, 2
	v_alignbit_b32 v31, v18, v18, 13
	v_alignbit_b32 v32, v18, v18, 22
	v_xor_b32_e32 v33, v5, v18
	v_xor3_b32 v12, v16, v12, v20
	v_add3_u32 v9, v29, v9, v30
	v_xor3_b32 v20, v26, v22, v28
	v_xor3_b32 v4, v31, v4, v32
	v_bfi_b32 v22, v33, v10, v18
	v_alignbit_b32 v26, v29, v29, 19
	v_add3_u32 v9, v9, v12, 0x5cb0a9dc
	v_alignbit_b32 v12, v29, v29, 17
	v_lshrrev_b32_e32 v28, 10, v29
	v_add3_u32 v4, v4, v22, v15
	v_add3_u32 v15, v3, v20, 0x11002000
	v_add_nc_u32_e32 v10, v9, v10
	v_xad_u32 v27, v11, v27, v13
	v_xor3_b32 v3, v26, v12, v28
	v_xor_b32_e32 v33, v18, v4
	v_alignbit_b32 v12, v4, v4, 2
	v_alignbit_b32 v20, v10, v10, 6
	;; [unrolled: 1-line block ×4, first 2 shown]
	v_bitop3_b32 v30, v10, v7, v8 bitop3:0xac
	v_alignbit_b32 v31, v4, v4, 13
	v_alignbit_b32 v32, v4, v4, 22
	;; [unrolled: 1-line block ×3, first 2 shown]
	v_xor3_b32 v20, v26, v20, v28
	v_add3_u32 v17, v15, v17, v30
	v_alignbit_b32 v26, v15, v15, 17
	v_alignbit_b32 v28, v15, v15, 19
	v_xor3_b32 v30, v31, v12, v32
	v_bfi_b32 v31, v33, v5, v4
	v_add3_u32 v17, v17, v20, 0x76f988da
	s_delay_alu instid0(VALU_DEP_4) | instskip(SKIP_1) | instid1(VALU_DEP_4)
	v_dual_lshrrev_b32 v20, 10, v15 :: v_dual_bitop2_b32 v26, v28, v26 bitop3:0x14
	v_add3_u32 v12, v2, v3, 0x80a00000
	v_add3_u32 v2, v30, v31, v9
	s_delay_alu instid0(VALU_DEP_4)
	v_add_nc_u32_e32 v3, v17, v5
	v_alignbit_b32 v16, v23, v23, 18
	v_xad_u32 v14, v26, v20, v14
	v_alignbit_b32 v5, v12, v12, 17
	v_xor_b32_e32 v32, v4, v2
	v_alignbit_b32 v11, v3, v3, 6
	v_alignbit_b32 v20, v3, v3, 11
	;; [unrolled: 1-line block ×3, first 2 shown]
	v_bitop3_b32 v28, v3, v8, v10 bitop3:0xac
	v_alignbit_b32 v9, v2, v2, 2
	v_alignbit_b32 v30, v2, v2, 13
	;; [unrolled: 1-line block ×3, first 2 shown]
	v_xor3_b32 v11, v20, v11, v26
	v_add3_u32 v7, v12, v7, v28
	v_alignbit_b32 v20, v12, v12, 19
	v_lshrrev_b32_e32 v26, 10, v12
	v_xor3_b32 v9, v30, v9, v31
	v_bfi_b32 v28, v32, v18, v2
	v_add3_u32 v7, v7, v11, 0x983e5152
	v_xor_b32_e32 v5, v20, v5
	v_alignbit_b32 v11, v14, v14, 17
	v_alignbit_b32 v20, v14, v14, 19
	v_add3_u32 v17, v9, v28, v17
	v_add_nc_u32_e32 v18, v7, v18
	v_xad_u32 v13, v5, v26, v13
	s_delay_alu instid0(VALU_DEP_4) | instskip(NEXT) | instid1(VALU_DEP_4)
	v_dual_lshrrev_b32 v9, 10, v14 :: v_dual_bitop2_b32 v5, v20, v11 bitop3:0x14
	v_alignbit_b32 v11, v17, v17, 2
	s_delay_alu instid0(VALU_DEP_4)
	v_alignbit_b32 v20, v18, v18, 6
	v_alignbit_b32 v26, v18, v18, 11
	;; [unrolled: 1-line block ×3, first 2 shown]
	v_bitop3_b32 v30, v18, v10, v3 bitop3:0xac
	v_alignbit_b32 v31, v17, v17, 13
	v_alignbit_b32 v32, v17, v17, 22
	v_xor_b32_e32 v33, v2, v17
	v_xor3_b32 v20, v26, v20, v28
	v_add3_u32 v8, v14, v8, v30
	v_alignbit_b32 v26, v13, v13, 17
	v_alignbit_b32 v28, v13, v13, 19
	v_xor3_b32 v30, v31, v11, v32
	v_bfi_b32 v31, v33, v4, v17
	v_add3_u32 v8, v8, v20, 0xa831c66d
	v_xad_u32 v11, v5, v9, v6
	v_dual_lshrrev_b32 v5, 10, v13 :: v_dual_bitop2_b32 v9, v28, v26 bitop3:0x14
	s_delay_alu instid0(VALU_DEP_4) | instskip(NEXT) | instid1(VALU_DEP_3)
	v_add3_u32 v20, v30, v31, v7
	v_dual_add_nc_u32 v4, v8, v4 :: v_dual_lshrrev_b32 v28, 10, v11
	v_alignbit_b32 v7, v11, v11, 17
	v_alignbit_b32 v26, v11, v11, 19
	s_delay_alu instid0(VALU_DEP_4) | instskip(NEXT) | instid1(VALU_DEP_4)
	v_alignbit_b32 v30, v20, v20, 2
	v_alignbit_b32 v31, v4, v4, 6
	v_alignbit_b32 v32, v4, v4, 11
	v_alignbit_b32 v33, v4, v4, 25
	v_bitop3_b32 v34, v4, v3, v18 bitop3:0xac
	v_alignbit_b32 v35, v20, v20, 13
	v_alignbit_b32 v36, v20, v20, 22
	v_xad_u32 v9, v9, v5, v23
	v_xor3_b32 v31, v32, v31, v33
	v_add3_u32 v10, v13, v10, v34
	v_xor_b32_e32 v37, v17, v20
	v_xad_u32 v0, v1, v0, v12
	v_lshrrev_b32_e32 v22, 3, v23
	s_delay_alu instid0(VALU_DEP_4) | instskip(SKIP_3) | instid1(VALU_DEP_4)
	v_add3_u32 v5, v10, v31, 0xb00327c8
	v_xor_b32_e32 v7, v26, v7
	v_xor3_b32 v26, v35, v30, v36
	v_bfi_b32 v30, v37, v2, v20
	v_add_nc_u32_e32 v2, v5, v2
	s_delay_alu instid0(VALU_DEP_4) | instskip(SKIP_1) | instid1(VALU_DEP_4)
	v_xad_u32 v10, v7, v28, v29
	v_xor_b32_e32 v16, v16, v19
	v_add3_u32 v19, v26, v30, v8
	v_alignbit_b32 v7, v9, v9, 17
	v_alignbit_b32 v8, v9, v9, 19
	v_lshrrev_b32_e32 v26, 10, v9
	v_alignbit_b32 v31, v2, v2, 6
	v_alignbit_b32 v32, v2, v2, 11
	;; [unrolled: 1-line block ×3, first 2 shown]
	v_bitop3_b32 v34, v2, v18, v4 bitop3:0xac
	v_xor3_b32 v7, v8, v7, v26
	v_alignbit_b32 v28, v19, v19, 2
	v_alignbit_b32 v30, v19, v19, 13
	v_xor3_b32 v8, v32, v31, v33
	v_add3_u32 v3, v11, v3, v34
	v_alignbit_b32 v35, v19, v19, 22
	v_alignbit_b32 v31, v10, v10, 19
	v_lshrrev_b32_e32 v32, 10, v10
	s_delay_alu instid0(VALU_DEP_4)
	v_add3_u32 v3, v3, v8, 0xbf597fc7
	v_xor_b32_e32 v36, v20, v19
	v_xor3_b32 v26, v30, v28, v35
	v_alignbit_b32 v30, v10, v10, 17
	v_add3_u32 v8, v15, v7, 0x400022
	v_add_nc_u32_e32 v1, v3, v17
	v_bfi_b32 v28, v36, v17, v19
	s_delay_alu instid0(VALU_DEP_3) | instskip(NEXT) | instid1(VALU_DEP_3)
	v_alignbit_b32 v35, v8, v8, 17
	v_bitop3_b32 v33, v1, v4, v2 bitop3:0xac
	s_delay_alu instid0(VALU_DEP_3)
	v_add3_u32 v26, v26, v28, v5
	v_xor3_b32 v5, v31, v30, v32
	v_alignbit_b32 v30, v1, v1, 6
	v_alignbit_b32 v31, v1, v1, 11
	;; [unrolled: 1-line block ×6, first 2 shown]
	v_xor_b32_e32 v34, v19, v26
	v_add3_u32 v18, v9, v18, v33
	s_delay_alu instid0(VALU_DEP_3)
	v_xor3_b32 v17, v17, v7, v28
	v_xor3_b32 v28, v31, v30, v32
	v_lshrrev_b32_e32 v32, 10, v8
	v_bfi_b32 v30, v34, v20, v26
	v_add3_u32 v7, v0, v5, 0x100
	v_alignbit_b32 v31, v8, v8, 19
	v_add3_u32 v0, v18, v28, 0xc6e00bf3
	v_xad_u32 v28, v16, v22, v6
	v_add3_u32 v3, v17, v30, v3
	v_alignbit_b32 v16, v7, v7, 17
	v_xor3_b32 v5, v31, v35, v32
	s_delay_alu instid0(VALU_DEP_3) | instskip(SKIP_3) | instid1(VALU_DEP_4)
	v_dual_add_nc_u32 v20, v0, v20 :: v_dual_bitop2_b32 v22, v26, v3 bitop3:0x14
	v_alignbit_b32 v6, v3, v3, 2
	v_alignbit_b32 v17, v3, v3, 13
	;; [unrolled: 1-line block ×6, first 2 shown]
	v_bitop3_b32 v33, v20, v2, v1 bitop3:0xac
	v_xor3_b32 v6, v17, v6, v18
	v_bfi_b32 v17, v22, v19, v3
	v_alignbit_b32 v18, v7, v7, 19
	v_xor3_b32 v30, v31, v30, v32
	v_add3_u32 v4, v10, v4, v33
	s_delay_alu instid0(VALU_DEP_4) | instskip(SKIP_2) | instid1(VALU_DEP_4)
	v_add3_u32 v22, v6, v17, v0
	v_lshrrev_b32_e32 v31, 10, v7
	v_add3_u32 v6, v21, v14, v5
	v_add3_u32 v4, v4, v30, 0xd5a79147
	v_alignbit_b32 v0, v29, v29, 7
	v_alignbit_b32 v17, v22, v22, 13
	v_xor_b32_e32 v21, v3, v22
	v_xor3_b32 v5, v18, v16, v31
	v_alignbit_b32 v16, v22, v22, 2
	v_alignbit_b32 v18, v22, v22, 22
	v_dual_add_nc_u32 v19, v4, v19 :: v_dual_lshrrev_b32 v34, 10, v6
	v_alignbit_b32 v30, v6, v6, 17
	v_alignbit_b32 v31, v6, v6, 19
	s_delay_alu instid0(VALU_DEP_4) | instskip(NEXT) | instid1(VALU_DEP_4)
	v_xor3_b32 v16, v17, v16, v18
	v_alignbit_b32 v17, v19, v19, 6
	v_alignbit_b32 v18, v19, v19, 11
	;; [unrolled: 1-line block ×3, first 2 shown]
	v_bitop3_b32 v33, v19, v1, v20 bitop3:0xac
	v_bfi_b32 v21, v21, v26, v22
	v_add3_u32 v5, v24, v13, v5
	s_delay_alu instid0(VALU_DEP_4) | instskip(NEXT) | instid1(VALU_DEP_4)
	v_xor3_b32 v17, v18, v17, v32
	v_add3_u32 v2, v8, v2, v33
	s_delay_alu instid0(VALU_DEP_4)
	v_add3_u32 v21, v16, v21, v4
	v_xor3_b32 v4, v31, v30, v34
	v_alignbit_b32 v16, v5, v5, 17
	v_alignbit_b32 v24, v5, v5, 19
	v_add3_u32 v2, v2, v17, 0x6ca6351
	v_alignbit_b32 v17, v21, v21, 2
	v_alignbit_b32 v30, v21, v21, 13
	v_alignbit_b32 v31, v21, v21, 22
	v_add3_u32 v4, v25, v11, v4
	v_xor_b32_e32 v32, v22, v21
	v_dual_add_nc_u32 v18, v2, v26 :: v_dual_lshrrev_b32 v26, 10, v5
	s_delay_alu instid0(VALU_DEP_4) | instskip(NEXT) | instid1(VALU_DEP_4)
	v_xor3_b32 v17, v30, v17, v31
	v_alignbit_b32 v34, v4, v4, 17
	s_delay_alu instid0(VALU_DEP_4) | instskip(NEXT) | instid1(VALU_DEP_4)
	v_bfi_b32 v25, v32, v3, v21
	v_alignbit_b32 v30, v18, v18, 6
	v_alignbit_b32 v31, v18, v18, 11
	;; [unrolled: 1-line block ×3, first 2 shown]
	v_bitop3_b32 v33, v18, v20, v19 bitop3:0xac
	v_add3_u32 v17, v17, v25, v2
	v_alignbit_b32 v2, v4, v4, 19
	s_delay_alu instid0(VALU_DEP_4) | instskip(NEXT) | instid1(VALU_DEP_4)
	v_xor3_b32 v25, v31, v30, v32
	v_add3_u32 v1, v7, v1, v33
	v_lshrrev_b32_e32 v30, 10, v4
	v_alignbit_b32 v31, v17, v17, 2
	v_alignbit_b32 v32, v17, v17, 13
	;; [unrolled: 1-line block ×3, first 2 shown]
	v_add3_u32 v25, v1, v25, 0x14292967
	v_xor3_b32 v1, v24, v16, v26
	v_alignbit_b32 v24, v29, v29, 18
	v_xor3_b32 v26, v2, v34, v30
	v_xor3_b32 v30, v32, v31, v33
	v_add_nc_u32_e32 v16, v25, v3
	v_add3_u32 v2, v27, v9, v1
	v_xor_b32_e32 v1, v21, v17
	v_add3_u32 v3, v28, v10, v26
	v_dual_lshrrev_b32 v26, 3, v29 :: v_dual_bitop2_b32 v0, v24, v0 bitop3:0x14
	v_lshrrev_b32_e32 v33, 3, v15
	v_alignbit_b32 v24, v2, v2, 17
	v_alignbit_b32 v27, v2, v2, 19
	v_lshrrev_b32_e32 v28, 10, v2
	v_alignbit_b32 v31, v15, v15, 7
	v_alignbit_b32 v32, v15, v15, 18
	v_xad_u32 v0, v0, v26, v23
	v_alignbit_b32 v34, v3, v3, 17
	v_alignbit_b32 v35, v3, v3, 19
	v_lshrrev_b32_e32 v36, 10, v3
	v_xor_b32_e32 v31, v32, v31
	v_bfi_b32 v32, v1, v22, v17
	v_xor3_b32 v1, v27, v24, v28
	v_alignbit_b32 v27, v12, v12, 7
	v_alignbit_b32 v28, v12, v12, 18
	v_xor3_b32 v24, v35, v34, v36
	v_add3_u32 v23, v30, v32, v25
	v_add3_u32 v1, v0, v8, v1
	v_alignbit_b32 v30, v16, v16, 25
	v_xor_b32_e32 v25, v28, v27
	v_alignbit_b32 v28, v16, v16, 6
	v_alignbit_b32 v34, v14, v14, 18
	v_lshrrev_b32_e32 v32, 10, v1
	v_xad_u32 v26, v31, v33, v29
	v_alignbit_b32 v29, v16, v16, 11
	v_bitop3_b32 v31, v16, v19, v18 bitop3:0xac
	v_alignbit_b32 v27, v1, v1, 19
	v_alignbit_b32 v33, v14, v14, 7
	v_add3_u32 v0, v26, v7, v24
	v_xor3_b32 v28, v29, v28, v30
	v_add3_u32 v20, v6, v20, v31
	v_lshrrev_b32_e32 v24, 3, v12
	v_alignbit_b32 v26, v1, v1, 17
	v_alignbit_b32 v29, v23, v23, 22
	;; [unrolled: 1-line block ×3, first 2 shown]
	v_add3_u32 v20, v20, v28, 0x27b70a85
	v_xad_u32 v15, v25, v24, v15
	v_xor3_b32 v26, v27, v26, v32
	v_xor_b32_e32 v25, v34, v33
	v_alignbit_b32 v27, v23, v23, 2
	v_alignbit_b32 v28, v23, v23, 13
	v_add_nc_u32_e32 v22, v20, v22
	v_dual_lshrrev_b32 v24, 3, v14 :: v_dual_lshrrev_b32 v32, 10, v0
	v_alignbit_b32 v31, v0, v0, 19
	s_delay_alu instid0(VALU_DEP_4)
	v_xor3_b32 v27, v28, v27, v29
	v_xor_b32_e32 v28, v17, v23
	v_alignbit_b32 v29, v22, v22, 6
	v_alignbit_b32 v33, v22, v22, 11
	;; [unrolled: 1-line block ×3, first 2 shown]
	v_bitop3_b32 v35, v22, v18, v16 bitop3:0xac
	v_bfi_b32 v28, v28, v21, v23
	v_xad_u32 v12, v25, v24, v12
	v_xor3_b32 v30, v31, v30, v32
	v_xor3_b32 v24, v33, v29, v34
	v_add3_u32 v19, v5, v19, v35
	v_add3_u32 v20, v27, v28, v20
	v_add3_u32 v15, v15, v6, v26
	v_add3_u32 v12, v12, v5, v30
	v_alignbit_b32 v27, v13, v13, 7
	v_add3_u32 v19, v19, v24, 0x2e1b2138
	v_alignbit_b32 v24, v20, v20, 2
	v_alignbit_b32 v25, v20, v20, 13
	;; [unrolled: 1-line block ×3, first 2 shown]
	s_delay_alu instid0(VALU_DEP_4) | instskip(SKIP_2) | instid1(VALU_DEP_4)
	v_dual_lshrrev_b32 v34, 10, v15 :: v_dual_add_nc_u32 v21, v19, v21
	v_alignbit_b32 v28, v13, v13, 18
	v_alignbit_b32 v29, v15, v15, 17
	v_xor3_b32 v24, v25, v24, v26
	v_xor_b32_e32 v25, v23, v20
	v_alignbit_b32 v26, v21, v21, 6
	v_alignbit_b32 v30, v21, v21, 11
	;; [unrolled: 1-line block ×3, first 2 shown]
	v_bitop3_b32 v32, v21, v16, v22 bitop3:0xac
	v_bfi_b32 v25, v25, v17, v20
	v_alignbit_b32 v33, v15, v15, 19
	s_delay_alu instid0(VALU_DEP_4) | instskip(NEXT) | instid1(VALU_DEP_4)
	v_xor3_b32 v26, v30, v26, v31
	v_add3_u32 v18, v4, v18, v32
	s_delay_alu instid0(VALU_DEP_4) | instskip(SKIP_1) | instid1(VALU_DEP_3)
	v_add3_u32 v19, v24, v25, v19
	v_lshrrev_b32_e32 v24, 3, v13
	v_add3_u32 v18, v18, v26, 0x4d2c6dfc
	v_xor_b32_e32 v25, v28, v27
	v_xor3_b32 v27, v33, v29, v34
	v_alignbit_b32 v26, v19, v19, 2
	v_alignbit_b32 v28, v19, v19, 13
	;; [unrolled: 1-line block ×3, first 2 shown]
	v_add_nc_u32_e32 v17, v18, v17
	v_xad_u32 v14, v25, v24, v14
	v_alignbit_b32 v24, v11, v11, 7
	v_alignbit_b32 v25, v11, v11, 18
	v_xor3_b32 v26, v28, v26, v29
	v_xor_b32_e32 v28, v20, v19
	v_alignbit_b32 v29, v17, v17, 6
	v_alignbit_b32 v30, v17, v17, 11
	;; [unrolled: 1-line block ×3, first 2 shown]
	v_bitop3_b32 v32, v17, v22, v21 bitop3:0xac
	v_dual_lshrrev_b32 v33, 3, v11 :: v_dual_bitop2_b32 v24, v25, v24 bitop3:0x14
	v_add3_u32 v14, v14, v4, v27
	s_delay_alu instid0(VALU_DEP_4) | instskip(NEXT) | instid1(VALU_DEP_4)
	v_xor3_b32 v25, v30, v29, v31
	v_add3_u32 v16, v2, v16, v32
	v_lshrrev_b32_e32 v29, 10, v12
	v_bfi_b32 v28, v28, v23, v19
	v_xad_u32 v13, v24, v33, v13
	v_alignbit_b32 v32, v9, v9, 18
	v_add3_u32 v16, v16, v25, 0x53380d13
	v_lshrrev_b32_e32 v33, 3, v9
	v_add3_u32 v18, v26, v28, v18
	v_alignbit_b32 v26, v12, v12, 17
	v_alignbit_b32 v28, v12, v12, 19
	v_add_nc_u32_e32 v23, v16, v23
	s_delay_alu instid0(VALU_DEP_4) | instskip(SKIP_3) | instid1(VALU_DEP_2)
	v_alignbit_b32 v25, v18, v18, 2
	v_alignbit_b32 v30, v18, v18, 13
	;; [unrolled: 1-line block ×3, first 2 shown]
	v_xor3_b32 v26, v28, v26, v29
	v_xor3_b32 v24, v30, v25, v31
	v_xor_b32_e32 v25, v19, v18
	v_alignbit_b32 v27, v23, v23, 6
	v_alignbit_b32 v28, v23, v23, 11
	;; [unrolled: 1-line block ×3, first 2 shown]
	v_bitop3_b32 v30, v23, v21, v17 bitop3:0xac
	v_bfi_b32 v25, v25, v20, v18
	v_alignbit_b32 v31, v9, v9, 7
	s_delay_alu instid0(VALU_DEP_4) | instskip(NEXT) | instid1(VALU_DEP_4)
	v_xor3_b32 v27, v28, v27, v29
	v_add3_u32 v22, v3, v22, v30
	s_delay_alu instid0(VALU_DEP_4)
	v_add3_u32 v16, v24, v25, v16
	v_alignbit_b32 v24, v14, v14, 17
	v_alignbit_b32 v25, v14, v14, 19
	v_lshrrev_b32_e32 v28, 10, v14
	v_add3_u32 v22, v22, v27, 0x650a7354
	v_alignbit_b32 v27, v16, v16, 2
	v_alignbit_b32 v29, v16, v16, 13
	;; [unrolled: 1-line block ×3, first 2 shown]
	s_delay_alu instid0(VALU_DEP_4) | instskip(SKIP_1) | instid1(VALU_DEP_3)
	v_dual_add_nc_u32 v20, v22, v20 :: v_dual_bitop2_b32 v31, v32, v31 bitop3:0x14
	v_xor3_b32 v24, v25, v24, v28
	v_xor3_b32 v25, v29, v27, v30
	v_xor_b32_e32 v27, v18, v16
	s_delay_alu instid0(VALU_DEP_4)
	v_alignbit_b32 v28, v20, v20, 6
	v_alignbit_b32 v29, v20, v20, 11
	;; [unrolled: 1-line block ×3, first 2 shown]
	v_bitop3_b32 v32, v20, v17, v23 bitop3:0xac
	v_xad_u32 v31, v31, v33, v11
	v_add3_u32 v11, v13, v2, v26
	s_delay_alu instid0(VALU_DEP_4) | instskip(NEXT) | instid1(VALU_DEP_4)
	v_xor3_b32 v26, v29, v28, v30
	v_add3_u32 v21, v1, v21, v32
	v_lshrrev_b32_e32 v29, 3, v10
	v_bfi_b32 v27, v27, v19, v16
	v_add3_u32 v13, v31, v3, v24
	v_alignbit_b32 v24, v10, v10, 7
	v_add3_u32 v21, v21, v26, 0x766a0abb
	v_alignbit_b32 v30, v11, v11, 17
	;; [unrolled: 2-line block ×3, first 2 shown]
	v_lshrrev_b32_e32 v35, 10, v11
	v_add_nc_u32_e32 v19, v21, v19
	v_alignbit_b32 v31, v11, v11, 19
	v_alignbit_b32 v26, v22, v22, 2
	;; [unrolled: 1-line block ×4, first 2 shown]
	v_xor_b32_e32 v24, v25, v24
	v_alignbit_b32 v36, v13, v13, 19
	v_lshrrev_b32_e32 v37, 10, v13
	s_delay_alu instid0(VALU_DEP_4)
	v_xor3_b32 v26, v27, v26, v28
	v_xor_b32_e32 v27, v16, v22
	v_alignbit_b32 v28, v19, v19, 6
	v_alignbit_b32 v32, v19, v19, 11
	v_alignbit_b32 v33, v19, v19, 25
	v_bitop3_b32 v34, v19, v23, v20 bitop3:0xac
	v_bfi_b32 v27, v27, v18, v22
	v_xad_u32 v9, v24, v29, v9
	s_delay_alu instid0(VALU_DEP_4) | instskip(NEXT) | instid1(VALU_DEP_4)
	v_xor3_b32 v25, v32, v28, v33
	v_add3_u32 v17, v0, v17, v34
	s_delay_alu instid0(VALU_DEP_4)
	v_add3_u32 v21, v26, v27, v21
	v_xor3_b32 v26, v31, v30, v35
	v_alignbit_b32 v27, v8, v8, 7
	v_alignbit_b32 v28, v8, v8, 18
	v_add3_u32 v17, v17, v25, 0x81c2c92e
	v_alignbit_b32 v25, v21, v21, 2
	v_alignbit_b32 v30, v21, v21, 13
	;; [unrolled: 1-line block ×3, first 2 shown]
	s_delay_alu instid0(VALU_DEP_4) | instskip(SKIP_2) | instid1(VALU_DEP_4)
	v_dual_lshrrev_b32 v32, 3, v8 :: v_dual_add_nc_u32 v18, v17, v18
	v_xor_b32_e32 v27, v28, v27
	v_alignbit_b32 v28, v13, v13, 17
	v_xor3_b32 v25, v30, v25, v31
	s_delay_alu instid0(VALU_DEP_4) | instskip(SKIP_4) | instid1(VALU_DEP_3)
	v_alignbit_b32 v31, v18, v18, 6
	v_alignbit_b32 v33, v18, v18, 11
	;; [unrolled: 1-line block ×3, first 2 shown]
	v_bitop3_b32 v35, v18, v20, v19 bitop3:0xac
	v_xor3_b32 v24, v36, v28, v37
	v_xor3_b32 v31, v33, v31, v34
	s_delay_alu instid0(VALU_DEP_3) | instskip(SKIP_2) | instid1(VALU_DEP_3)
	v_add3_u32 v23, v15, v23, v35
	v_alignbit_b32 v33, v6, v6, 7
	v_alignbit_b32 v34, v6, v6, 18
	v_add3_u32 v23, v23, v31, 0x92722c85
	v_xor_b32_e32 v30, v22, v21
	v_alignbit_b32 v31, v7, v7, 18
	s_delay_alu instid0(VALU_DEP_2) | instskip(NEXT) | instid1(VALU_DEP_4)
	v_bfi_b32 v30, v30, v16, v21
	v_add_nc_u32_e32 v16, v23, v16
	s_delay_alu instid0(VALU_DEP_2) | instskip(SKIP_2) | instid1(VALU_DEP_4)
	v_add3_u32 v17, v25, v30, v17
	v_xad_u32 v25, v27, v32, v10
	v_add3_u32 v10, v9, v1, v26
	v_alignbit_b32 v26, v16, v16, 6
	v_alignbit_b32 v30, v7, v7, 7
	;; [unrolled: 1-line block ×5, first 2 shown]
	v_add3_u32 v9, v25, v0, v24
	v_xor_b32_e32 v25, v21, v17
	v_xor_b32_e32 v30, v31, v30
	s_delay_alu instid0(VALU_DEP_4) | instskip(SKIP_3) | instid1(VALU_DEP_2)
	v_xor3_b32 v24, v28, v27, v29
	v_alignbit_b32 v27, v16, v16, 11
	v_alignbit_b32 v28, v16, v16, 25
	v_bitop3_b32 v29, v16, v19, v18 bitop3:0xac
	v_xor3_b32 v26, v27, v26, v28
	s_delay_alu instid0(VALU_DEP_2) | instskip(SKIP_2) | instid1(VALU_DEP_3)
	v_add3_u32 v20, v12, v20, v29
	v_lshrrev_b32_e32 v27, 10, v10
	v_bfi_b32 v25, v25, v22, v17
	v_add3_u32 v20, v20, v26, 0xa2bfe8a1
	v_lshrrev_b32_e32 v32, 3, v7
	s_delay_alu instid0(VALU_DEP_3)
	v_add3_u32 v23, v24, v25, v23
	v_alignbit_b32 v24, v10, v10, 17
	v_alignbit_b32 v25, v10, v10, 19
	v_add_nc_u32_e32 v22, v20, v22
	v_xad_u32 v8, v30, v32, v8
	v_alignbit_b32 v26, v23, v23, 2
	v_alignbit_b32 v28, v23, v23, 13
	;; [unrolled: 1-line block ×3, first 2 shown]
	v_xor3_b32 v24, v25, v24, v27
	v_alignbit_b32 v27, v22, v22, 6
	v_bitop3_b32 v31, v22, v18, v16 bitop3:0xac
	v_alignbit_b32 v30, v9, v9, 17
	v_xor3_b32 v25, v28, v26, v29
	v_xor_b32_e32 v26, v17, v23
	v_alignbit_b32 v28, v22, v22, 11
	v_alignbit_b32 v29, v22, v22, 25
	v_add3_u32 v19, v14, v19, v31
	v_add3_u32 v8, v8, v15, v24
	v_bfi_b32 v26, v26, v21, v23
	v_alignbit_b32 v31, v9, v9, 19
	v_xor3_b32 v27, v28, v27, v29
	v_lshrrev_b32_e32 v32, 10, v9
	s_delay_alu instid0(VALU_DEP_4) | instskip(SKIP_1) | instid1(VALU_DEP_4)
	v_add3_u32 v20, v25, v26, v20
	v_lshrrev_b32_e32 v25, 3, v6
	v_add3_u32 v19, v19, v27, 0xa81a664b
	v_xor_b32_e32 v26, v34, v33
	v_xor3_b32 v30, v31, v30, v32
	v_alignbit_b32 v27, v20, v20, 2
	v_alignbit_b32 v28, v20, v20, 13
	;; [unrolled: 1-line block ×3, first 2 shown]
	v_add_nc_u32_e32 v21, v19, v21
	v_xad_u32 v7, v26, v25, v7
	s_delay_alu instid0(VALU_DEP_3) | instskip(NEXT) | instid1(VALU_DEP_3)
	v_xor3_b32 v27, v28, v27, v29
	v_alignbit_b32 v29, v21, v21, 6
	v_alignbit_b32 v33, v21, v21, 11
	;; [unrolled: 1-line block ×3, first 2 shown]
	v_bitop3_b32 v35, v21, v16, v22 bitop3:0xac
	v_add3_u32 v7, v7, v12, v30
	s_delay_alu instid0(VALU_DEP_3) | instskip(NEXT) | instid1(VALU_DEP_3)
	v_xor3_b32 v25, v33, v29, v34
	v_add3_u32 v18, v11, v18, v35
	v_alignbit_b32 v29, v8, v8, 17
	v_alignbit_b32 v33, v8, v8, 19
	v_lshrrev_b32_e32 v34, 10, v8
	s_delay_alu instid0(VALU_DEP_4) | instskip(SKIP_1) | instid1(VALU_DEP_1)
	v_add3_u32 v18, v18, v25, 0xc24b8b70
	v_xor_b32_e32 v28, v23, v20
	v_bfi_b32 v28, v28, v17, v20
	s_delay_alu instid0(VALU_DEP_3) | instskip(NEXT) | instid1(VALU_DEP_2)
	v_add_nc_u32_e32 v17, v18, v17
	v_add3_u32 v19, v27, v28, v19
	s_delay_alu instid0(VALU_DEP_2)
	v_alignbit_b32 v30, v17, v17, 11
	v_alignbit_b32 v31, v17, v17, 25
	v_alignbit_b32 v27, v5, v5, 7
	v_alignbit_b32 v28, v5, v5, 18
	v_alignbit_b32 v24, v19, v19, 2
	v_alignbit_b32 v25, v19, v19, 13
	v_alignbit_b32 v26, v19, v19, 22
	s_delay_alu instid0(VALU_DEP_1) | instskip(SKIP_3) | instid1(VALU_DEP_3)
	v_xor3_b32 v24, v25, v24, v26
	v_xor_b32_e32 v25, v20, v19
	v_alignbit_b32 v26, v17, v17, 6
	v_bitop3_b32 v32, v17, v22, v21 bitop3:0xac
	v_bfi_b32 v25, v25, v23, v19
	s_delay_alu instid0(VALU_DEP_3) | instskip(NEXT) | instid1(VALU_DEP_3)
	v_xor3_b32 v26, v30, v26, v31
	v_add3_u32 v16, v13, v16, v32
	s_delay_alu instid0(VALU_DEP_3) | instskip(SKIP_1) | instid1(VALU_DEP_3)
	v_add3_u32 v18, v24, v25, v18
	v_dual_lshrrev_b32 v24, 3, v5 :: v_dual_bitop2_b32 v25, v28, v27 bitop3:0x14
	v_add3_u32 v16, v16, v26, 0xc76c51a3
	v_xor3_b32 v27, v33, v29, v34
	s_delay_alu instid0(VALU_DEP_4)
	v_alignbit_b32 v26, v18, v18, 2
	v_alignbit_b32 v28, v18, v18, 13
	;; [unrolled: 1-line block ×3, first 2 shown]
	v_add_nc_u32_e32 v23, v16, v23
	v_xad_u32 v6, v25, v24, v6
	v_alignbit_b32 v24, v4, v4, 7
	v_alignbit_b32 v25, v4, v4, 18
	v_xor3_b32 v26, v28, v26, v29
	v_xor_b32_e32 v28, v19, v18
	v_alignbit_b32 v29, v23, v23, 6
	v_alignbit_b32 v30, v23, v23, 11
	;; [unrolled: 1-line block ×3, first 2 shown]
	v_bitop3_b32 v32, v23, v21, v17 bitop3:0xac
	v_add3_u32 v6, v6, v14, v27
	v_xor_b32_e32 v24, v25, v24
	v_bfi_b32 v28, v28, v20, v18
	v_xor3_b32 v25, v30, v29, v31
	v_add3_u32 v22, v10, v22, v32
	v_dual_lshrrev_b32 v33, 3, v4 :: v_dual_lshrrev_b32 v29, 10, v7
	s_delay_alu instid0(VALU_DEP_4) | instskip(SKIP_1) | instid1(VALU_DEP_4)
	v_add3_u32 v16, v26, v28, v16
	v_alignbit_b32 v26, v7, v7, 17
	v_add3_u32 v22, v22, v25, 0xd192e819
	v_alignbit_b32 v28, v7, v7, 19
	v_alignbit_b32 v32, v2, v2, 18
	;; [unrolled: 1-line block ×4, first 2 shown]
	v_add_nc_u32_e32 v20, v22, v20
	v_alignbit_b32 v31, v16, v16, 22
	v_xor3_b32 v26, v28, v26, v29
	s_delay_alu instid0(VALU_DEP_3) | instskip(SKIP_2) | instid1(VALU_DEP_1)
	v_alignbit_b32 v27, v20, v20, 6
	v_alignbit_b32 v28, v20, v20, 11
	;; [unrolled: 1-line block ×3, first 2 shown]
	v_xor3_b32 v27, v28, v27, v29
	v_lshrrev_b32_e32 v28, 10, v6
	v_xad_u32 v5, v24, v33, v5
	v_xor3_b32 v24, v30, v25, v31
	v_lshrrev_b32_e32 v33, 3, v2
	v_bitop3_b32 v30, v20, v17, v23 bitop3:0xac
	v_alignbit_b32 v31, v2, v2, 7
	v_add3_u32 v5, v5, v11, v26
	s_delay_alu instid0(VALU_DEP_3) | instskip(NEXT) | instid1(VALU_DEP_3)
	v_add3_u32 v21, v9, v21, v30
	v_xor_b32_e32 v31, v32, v31
	s_delay_alu instid0(VALU_DEP_2) | instskip(SKIP_1) | instid1(VALU_DEP_1)
	v_add3_u32 v21, v21, v27, 0xd6990624
	v_xor_b32_e32 v25, v18, v16
	v_bfi_b32 v25, v25, v19, v16
	s_delay_alu instid0(VALU_DEP_3) | instskip(NEXT) | instid1(VALU_DEP_2)
	v_add_nc_u32_e32 v19, v21, v19
	v_add3_u32 v22, v24, v25, v22
	v_alignbit_b32 v24, v6, v6, 17
	v_alignbit_b32 v25, v6, v6, 19
	s_delay_alu instid0(VALU_DEP_4) | instskip(NEXT) | instid1(VALU_DEP_4)
	v_bitop3_b32 v32, v19, v23, v20 bitop3:0xac
	v_alignbit_b32 v27, v22, v22, 2
	v_alignbit_b32 v29, v22, v22, 13
	v_alignbit_b32 v30, v22, v22, 22
	v_xor3_b32 v24, v25, v24, v28
	v_alignbit_b32 v28, v19, v19, 6
	v_add3_u32 v17, v8, v17, v32
	s_delay_alu instid0(VALU_DEP_4) | instskip(SKIP_3) | instid1(VALU_DEP_1)
	v_xor3_b32 v25, v29, v27, v30
	v_xor_b32_e32 v27, v16, v22
	v_alignbit_b32 v29, v19, v19, 11
	v_alignbit_b32 v30, v19, v19, 25
	v_xor3_b32 v26, v29, v28, v30
	v_lshrrev_b32_e32 v29, 3, v3
	v_bfi_b32 v27, v27, v18, v22
	v_alignbit_b32 v30, v5, v5, 17
	s_delay_alu instid0(VALU_DEP_4) | instskip(NEXT) | instid1(VALU_DEP_3)
	v_add3_u32 v17, v17, v26, 0xf40e3585
	v_add3_u32 v21, v25, v27, v21
	v_alignbit_b32 v25, v3, v3, 18
	s_delay_alu instid0(VALU_DEP_3) | instskip(SKIP_1) | instid1(VALU_DEP_4)
	v_add_nc_u32_e32 v18, v17, v18
	v_xad_u32 v4, v31, v33, v4
	v_alignbit_b32 v26, v21, v21, 2
	v_alignbit_b32 v27, v21, v21, 13
	;; [unrolled: 1-line block ×4, first 2 shown]
	v_add3_u32 v4, v4, v13, v24
	v_alignbit_b32 v24, v3, v3, 7
	v_alignbit_b32 v33, v18, v18, 25
	v_xor3_b32 v26, v27, v26, v28
	v_alignbit_b32 v28, v18, v18, 6
	v_bitop3_b32 v34, v18, v20, v19 bitop3:0xac
	v_dual_lshrrev_b32 v35, 10, v5 :: v_dual_bitop2_b32 v24, v25, v24 bitop3:0x14
	v_alignbit_b32 v31, v5, v5, 19
	s_delay_alu instid0(VALU_DEP_4) | instskip(NEXT) | instid1(VALU_DEP_4)
	v_xor3_b32 v25, v32, v28, v33
	v_add3_u32 v23, v7, v23, v34
	v_alignbit_b32 v28, v1, v1, 18
	v_lshrrev_b32_e32 v37, 10, v4
	v_alignbit_b32 v36, v4, v4, 19
	v_xad_u32 v2, v24, v29, v2
	v_add3_u32 v23, v23, v25, 0x106aa070
	v_xor_b32_e32 v27, v22, v21
	s_delay_alu instid0(VALU_DEP_1) | instskip(NEXT) | instid1(VALU_DEP_3)
	v_bfi_b32 v27, v27, v16, v21
	v_add_nc_u32_e32 v16, v23, v16
	s_delay_alu instid0(VALU_DEP_2) | instskip(SKIP_2) | instid1(VALU_DEP_4)
	v_add3_u32 v17, v26, v27, v17
	v_xor3_b32 v26, v31, v30, v35
	v_alignbit_b32 v27, v1, v1, 7
	v_alignbit_b32 v33, v16, v16, 11
	v_alignbit_b32 v34, v16, v16, 25
	v_alignbit_b32 v25, v17, v17, 2
	v_alignbit_b32 v30, v17, v17, 13
	v_alignbit_b32 v31, v17, v17, 22
	v_bitop3_b32 v35, v16, v19, v18 bitop3:0xac
	v_dual_lshrrev_b32 v32, 3, v1 :: v_dual_bitop2_b32 v27, v28, v27 bitop3:0x14
	v_alignbit_b32 v28, v4, v4, 17
	s_delay_alu instid0(VALU_DEP_4)
	v_xor3_b32 v25, v30, v25, v31
	v_xor_b32_e32 v30, v21, v17
	v_alignbit_b32 v31, v16, v16, 6
	v_add3_u32 v20, v6, v20, v35
	v_xor3_b32 v24, v36, v28, v37
	v_xad_u32 v3, v27, v32, v3
	v_bfi_b32 v30, v30, v22, v17
	v_xor3_b32 v31, v33, v31, v34
	v_add3_u32 v2, v2, v10, v26
	v_lshrrev_b32_e32 v32, 3, v0
	v_add3_u32 v3, v3, v9, v24
	v_add3_u32 v23, v25, v30, v23
	;; [unrolled: 1-line block ×3, first 2 shown]
	v_alignbit_b32 v30, v0, v0, 7
	v_alignbit_b32 v31, v0, v0, 18
	;; [unrolled: 1-line block ×6, first 2 shown]
	v_add_nc_u32_e32 v22, v20, v22
	v_xor_b32_e32 v30, v31, v30
	v_alignbit_b32 v34, v15, v15, 18
	s_delay_alu instid0(VALU_DEP_4)
	v_xor3_b32 v24, v27, v25, v28
	v_xor_b32_e32 v25, v17, v23
	v_alignbit_b32 v26, v22, v22, 6
	v_alignbit_b32 v27, v22, v22, 11
	;; [unrolled: 1-line block ×3, first 2 shown]
	v_bitop3_b32 v29, v22, v18, v16 bitop3:0xac
	v_bfi_b32 v25, v25, v21, v23
	s_delay_alu instid0(VALU_DEP_3) | instskip(NEXT) | instid1(VALU_DEP_3)
	v_xor3_b32 v26, v27, v26, v28
	v_add3_u32 v19, v5, v19, v29
	s_delay_alu instid0(VALU_DEP_3)
	v_add3_u32 v20, v24, v25, v20
	v_alignbit_b32 v24, v2, v2, 17
	v_alignbit_b32 v25, v2, v2, 19
	v_lshrrev_b32_e32 v27, 10, v2
	v_add3_u32 v19, v19, v26, 0x1e376c08
	v_alignbit_b32 v26, v20, v20, 2
	v_alignbit_b32 v28, v20, v20, 13
	;; [unrolled: 1-line block ×3, first 2 shown]
	v_xor3_b32 v24, v25, v24, v27
	v_add_nc_u32_e32 v21, v19, v21
	s_delay_alu instid0(VALU_DEP_3) | instskip(SKIP_1) | instid1(VALU_DEP_1)
	v_xor3_b32 v25, v28, v26, v29
	v_xor_b32_e32 v26, v23, v20
	v_bfi_b32 v26, v26, v17, v20
	s_delay_alu instid0(VALU_DEP_1)
	v_add3_u32 v19, v25, v26, v19
	v_lshrrev_b32_e32 v25, 3, v15
	v_alignbit_b32 v27, v21, v21, 6
	v_alignbit_b32 v28, v21, v21, 11
	;; [unrolled: 1-line block ×3, first 2 shown]
	v_bitop3_b32 v31, v21, v16, v22 bitop3:0xac
	v_xor_b32_e32 v26, v34, v33
	s_delay_alu instid0(VALU_DEP_3) | instskip(NEXT) | instid1(VALU_DEP_3)
	v_xor3_b32 v27, v28, v27, v29
	v_add3_u32 v18, v4, v18, v31
	v_alignbit_b32 v28, v19, v19, 13
	v_alignbit_b32 v29, v19, v19, 22
	v_xad_u32 v0, v26, v25, v0
	v_alignbit_b32 v31, v3, v3, 19
	v_add3_u32 v18, v18, v27, 0x2748774c
	v_alignbit_b32 v27, v19, v19, 2
	s_delay_alu instid0(VALU_DEP_2) | instskip(SKIP_1) | instid1(VALU_DEP_3)
	v_add_nc_u32_e32 v17, v18, v17
	v_xad_u32 v1, v30, v32, v1
	v_xor3_b32 v27, v28, v27, v29
	v_alignbit_b32 v30, v3, v3, 17
	v_lshrrev_b32_e32 v32, 10, v3
	v_alignbit_b32 v29, v17, v17, 6
	v_alignbit_b32 v33, v17, v17, 11
	;; [unrolled: 1-line block ×3, first 2 shown]
	v_bitop3_b32 v35, v17, v22, v21 bitop3:0xac
	v_add3_u32 v1, v1, v8, v24
	v_xor_b32_e32 v28, v20, v19
	v_xor3_b32 v30, v31, v30, v32
	v_xor3_b32 v25, v33, v29, v34
	v_add3_u32 v16, v2, v16, v35
	v_lshrrev_b32_e32 v34, 10, v1
	v_bfi_b32 v28, v28, v23, v19
	v_add3_u32 v0, v0, v7, v30
	v_alignbit_b32 v29, v1, v1, 17
	v_add3_u32 v16, v16, v25, 0x34b0bcb5
	v_alignbit_b32 v33, v1, v1, 19
	;; [unrolled: 2-line block ×3, first 2 shown]
	v_alignbit_b32 v28, v12, v12, 18
	v_add_nc_u32_e32 v23, v16, v23
	s_delay_alu instid0(VALU_DEP_4) | instskip(SKIP_2) | instid1(VALU_DEP_4)
	v_alignbit_b32 v24, v18, v18, 2
	v_alignbit_b32 v25, v18, v18, 13
	;; [unrolled: 1-line block ×5, first 2 shown]
	v_bitop3_b32 v32, v23, v21, v17 bitop3:0xac
	s_delay_alu instid0(VALU_DEP_4) | instskip(SKIP_2) | instid1(VALU_DEP_4)
	v_xor3_b32 v24, v25, v24, v26
	v_xor_b32_e32 v25, v19, v18
	v_alignbit_b32 v26, v23, v23, 6
	v_add3_u32 v22, v3, v22, v32
	s_delay_alu instid0(VALU_DEP_3) | instskip(NEXT) | instid1(VALU_DEP_3)
	v_bfi_b32 v25, v25, v20, v18
	v_xor3_b32 v26, v30, v26, v31
	s_delay_alu instid0(VALU_DEP_2) | instskip(NEXT) | instid1(VALU_DEP_2)
	v_add3_u32 v16, v24, v25, v16
	v_add3_u32 v22, v22, v26, 0x391c0cb3
	v_dual_lshrrev_b32 v24, 3, v12 :: v_dual_bitop2_b32 v25, v28, v27 bitop3:0x14
	v_xor3_b32 v27, v33, v29, v34
	s_delay_alu instid0(VALU_DEP_4)
	v_alignbit_b32 v26, v16, v16, 2
	v_alignbit_b32 v28, v16, v16, 13
	;; [unrolled: 1-line block ×3, first 2 shown]
	v_add_nc_u32_e32 v20, v22, v20
	v_xad_u32 v15, v25, v24, v15
	v_alignbit_b32 v24, v14, v14, 7
	v_alignbit_b32 v25, v14, v14, 18
	v_xor3_b32 v26, v28, v26, v29
	v_alignbit_b32 v29, v20, v20, 6
	v_alignbit_b32 v30, v20, v20, 11
	;; [unrolled: 1-line block ×3, first 2 shown]
	v_bitop3_b32 v32, v20, v17, v23 bitop3:0xac
	v_dual_lshrrev_b32 v33, 3, v14 :: v_dual_bitop2_b32 v28, v18, v16 bitop3:0x14
	v_add3_u32 v15, v15, v6, v27
	v_xor_b32_e32 v24, v25, v24
	v_xor3_b32 v25, v30, v29, v31
	v_add3_u32 v21, v1, v21, v32
	v_bfi_b32 v28, v28, v19, v16
	v_alignbit_b32 v32, v11, v11, 18
	s_delay_alu instid0(VALU_DEP_3) | instskip(NEXT) | instid1(VALU_DEP_3)
	v_add3_u32 v21, v21, v25, 0x4ed8aa4a
	v_add3_u32 v22, v26, v28, v22
	v_alignbit_b32 v26, v0, v0, 17
	v_alignbit_b32 v28, v0, v0, 19
	s_delay_alu instid0(VALU_DEP_4) | instskip(NEXT) | instid1(VALU_DEP_4)
	v_dual_lshrrev_b32 v29, 10, v0 :: v_dual_add_nc_u32 v19, v21, v19
	v_alignbit_b32 v25, v22, v22, 2
	v_alignbit_b32 v30, v22, v22, 13
	;; [unrolled: 1-line block ×3, first 2 shown]
	s_delay_alu instid0(VALU_DEP_4) | instskip(SKIP_3) | instid1(VALU_DEP_1)
	v_xor3_b32 v26, v28, v26, v29
	v_alignbit_b32 v27, v19, v19, 6
	v_alignbit_b32 v28, v19, v19, 11
	;; [unrolled: 1-line block ×3, first 2 shown]
	v_xor3_b32 v27, v28, v27, v29
	v_lshrrev_b32_e32 v28, 10, v15
	v_xad_u32 v12, v24, v33, v12
	v_xor3_b32 v24, v30, v25, v31
	v_dual_lshrrev_b32 v33, 3, v11 :: v_dual_bitop2_b32 v25, v16, v22 bitop3:0x14
	v_bitop3_b32 v30, v19, v23, v20 bitop3:0xac
	v_alignbit_b32 v31, v11, v11, 7
	v_add3_u32 v5, v12, v5, v26
	s_delay_alu instid0(VALU_DEP_4) | instskip(NEXT) | instid1(VALU_DEP_4)
	v_bfi_b32 v25, v25, v18, v22
	v_add3_u32 v17, v0, v17, v30
	s_delay_alu instid0(VALU_DEP_4) | instskip(NEXT) | instid1(VALU_DEP_3)
	v_xor_b32_e32 v31, v32, v31
	v_add3_u32 v21, v24, v25, v21
	v_alignbit_b32 v24, v15, v15, 17
	s_delay_alu instid0(VALU_DEP_4)
	v_add3_u32 v17, v17, v27, 0x5b9cca4f
	v_alignbit_b32 v25, v15, v15, 19
	v_xad_u32 v14, v31, v33, v14
	v_alignbit_b32 v27, v21, v21, 2
	v_alignbit_b32 v29, v21, v21, 13
	;; [unrolled: 1-line block ×3, first 2 shown]
	v_add_nc_u32_e32 v18, v17, v18
	v_xor3_b32 v24, v25, v24, v28
	s_delay_alu instid0(VALU_DEP_3) | instskip(NEXT) | instid1(VALU_DEP_3)
	v_xor3_b32 v25, v29, v27, v30
	v_alignbit_b32 v28, v18, v18, 6
	v_alignbit_b32 v29, v18, v18, 11
	;; [unrolled: 1-line block ×3, first 2 shown]
	v_bitop3_b32 v32, v18, v20, v19 bitop3:0xac
	v_add3_u32 v4, v14, v4, v24
	v_alignbit_b32 v14, v13, v13, 7
	v_alignbit_b32 v24, v13, v13, 18
	v_xor3_b32 v12, v29, v28, v30
	v_add3_u32 v23, v15, v23, v32
	v_alignbit_b32 v28, v5, v5, 17
	v_alignbit_b32 v29, v5, v5, 19
	v_xor_b32_e32 v14, v24, v14
	v_alignbit_b32 v34, v4, v4, 19
	v_add3_u32 v12, v23, v12, 0x682e6ff3
	v_dual_lshrrev_b32 v35, 10, v4 :: v_dual_bitop2_b32 v27, v22, v21 bitop3:0x14
	s_delay_alu instid0(VALU_DEP_1) | instskip(NEXT) | instid1(VALU_DEP_3)
	v_bfi_b32 v27, v27, v16, v21
	v_add_nc_u32_e32 v16, v12, v16
	s_delay_alu instid0(VALU_DEP_2) | instskip(NEXT) | instid1(VALU_DEP_2)
	v_add3_u32 v17, v25, v27, v17
	v_alignbit_b32 v30, v16, v16, 11
	v_alignbit_b32 v31, v16, v16, 25
	v_bitop3_b32 v32, v16, v19, v18 bitop3:0xac
	v_lshrrev_b32_e32 v27, 3, v13
	v_alignbit_b32 v23, v17, v17, 2
	v_alignbit_b32 v25, v17, v17, 13
	;; [unrolled: 1-line block ×3, first 2 shown]
	v_add3_u32 v20, v5, v20, v32
	v_xad_u32 v11, v14, v27, v11
	s_delay_alu instid0(VALU_DEP_3) | instskip(SKIP_2) | instid1(VALU_DEP_1)
	v_xor3_b32 v23, v25, v23, v26
	v_xor_b32_e32 v25, v21, v17
	v_alignbit_b32 v26, v16, v16, 6
	v_xor3_b32 v24, v30, v26, v31
	v_lshrrev_b32_e32 v30, 3, v10
	s_delay_alu instid0(VALU_DEP_4) | instskip(SKIP_1) | instid1(VALU_DEP_4)
	v_bfi_b32 v25, v25, v22, v17
	v_alignbit_b32 v26, v10, v10, 18
	v_add3_u32 v20, v20, v24, 0x748f82ee
	v_lshrrev_b32_e32 v33, 10, v5
	s_delay_alu instid0(VALU_DEP_4) | instskip(SKIP_1) | instid1(VALU_DEP_4)
	v_add3_u32 v12, v23, v25, v12
	v_alignbit_b32 v25, v10, v10, 7
	v_add_nc_u32_e32 v22, v20, v22
	s_delay_alu instid0(VALU_DEP_4) | instskip(NEXT) | instid1(VALU_DEP_4)
	v_xor3_b32 v23, v29, v28, v33
	v_alignbit_b32 v24, v12, v12, 2
	v_alignbit_b32 v28, v12, v12, 13
	v_alignbit_b32 v29, v12, v12, 22
	v_alignbit_b32 v31, v22, v22, 11
	v_alignbit_b32 v32, v22, v22, 25
	v_bitop3_b32 v33, v22, v18, v16 bitop3:0xac
	v_xor_b32_e32 v25, v26, v25
	v_xor3_b32 v24, v28, v24, v29
	v_alignbit_b32 v29, v22, v22, 6
	v_alignbit_b32 v26, v4, v4, 17
	v_add3_u32 v4, v4, v19, v33
	v_xad_u32 v13, v25, v30, v13
	v_add3_u32 v2, v11, v2, v23
	v_xor3_b32 v29, v31, v29, v32
	v_xor3_b32 v14, v34, v26, v35
	v_alignbit_b32 v26, v9, v9, 18
	s_delay_alu instid0(VALU_DEP_3) | instskip(SKIP_1) | instid1(VALU_DEP_4)
	v_add3_u32 v4, v4, v29, 0x78a5636f
	v_xor_b32_e32 v28, v17, v12
	v_add3_u32 v3, v13, v3, v14
	s_delay_alu instid0(VALU_DEP_2) | instskip(NEXT) | instid1(VALU_DEP_4)
	v_bfi_b32 v28, v28, v21, v12
	v_add_nc_u32_e32 v21, v4, v21
	s_delay_alu instid0(VALU_DEP_2) | instskip(NEXT) | instid1(VALU_DEP_2)
	v_add3_u32 v19, v24, v28, v20
	v_alignbit_b32 v14, v21, v21, 6
	v_alignbit_b32 v23, v21, v21, 25
	s_delay_alu instid0(VALU_DEP_3) | instskip(SKIP_3) | instid1(VALU_DEP_2)
	v_alignbit_b32 v20, v19, v19, 2
	v_alignbit_b32 v24, v19, v19, 13
	;; [unrolled: 1-line block ×3, first 2 shown]
	v_xor_b32_e32 v13, v12, v19
	v_xor3_b32 v11, v24, v20, v25
	v_alignbit_b32 v20, v21, v21, 11
	v_bitop3_b32 v24, v21, v16, v22 bitop3:0xac
	s_delay_alu instid0(VALU_DEP_4) | instskip(SKIP_1) | instid1(VALU_DEP_4)
	v_bfi_b32 v13, v13, v17, v19
	v_alignbit_b32 v25, v9, v9, 7
	v_xor3_b32 v14, v20, v14, v23
	s_delay_alu instid0(VALU_DEP_4) | instskip(NEXT) | instid1(VALU_DEP_4)
	v_add3_u32 v18, v2, v18, v24
	v_add3_u32 v4, v11, v13, v4
	v_alignbit_b32 v11, v2, v2, 17
	v_alignbit_b32 v13, v2, v2, 19
	v_lshrrev_b32_e32 v2, 10, v2
	v_add3_u32 v14, v18, v14, 0x84c87814
	v_alignbit_b32 v18, v4, v4, 2
	v_alignbit_b32 v20, v4, v4, 13
	;; [unrolled: 1-line block ×3, first 2 shown]
	v_xor3_b32 v2, v13, v11, v2
	v_add_nc_u32_e32 v17, v14, v17
	v_dual_lshrrev_b32 v24, 3, v9 :: v_dual_bitop2_b32 v13, v19, v4 bitop3:0x14
	s_delay_alu instid0(VALU_DEP_4) | instskip(SKIP_1) | instid1(VALU_DEP_4)
	v_xor3_b32 v11, v20, v18, v23
	v_xor_b32_e32 v25, v26, v25
	v_alignbit_b32 v18, v17, v17, 6
	v_alignbit_b32 v20, v17, v17, 11
	v_alignbit_b32 v23, v17, v17, 25
	v_bfi_b32 v13, v13, v12, v4
	s_delay_alu instid0(VALU_DEP_2) | instskip(SKIP_2) | instid1(VALU_DEP_4)
	v_xor3_b32 v18, v20, v18, v23
	v_lshrrev_b32_e32 v20, 3, v8
	v_bitop3_b32 v26, v17, v22, v21 bitop3:0xac
	v_add3_u32 v11, v11, v13, v14
	s_delay_alu instid0(VALU_DEP_2) | instskip(NEXT) | instid1(VALU_DEP_2)
	v_add3_u32 v16, v3, v16, v26
	v_alignbit_b32 v14, v11, v11, 2
	v_alignbit_b32 v26, v3, v3, 19
	s_delay_alu instid0(VALU_DEP_3) | instskip(SKIP_2) | instid1(VALU_DEP_3)
	v_add3_u32 v13, v16, v18, 0x8cc70208
	v_alignbit_b32 v16, v11, v11, 13
	v_alignbit_b32 v18, v11, v11, 22
	v_add_nc_u32_e32 v12, v13, v12
	v_xad_u32 v10, v25, v24, v10
	s_delay_alu instid0(VALU_DEP_3) | instskip(NEXT) | instid1(VALU_DEP_3)
	v_xor3_b32 v14, v16, v14, v18
	v_alignbit_b32 v18, v12, v12, 6
	s_delay_alu instid0(VALU_DEP_3)
	v_add3_u32 v1, v10, v1, v2
	v_alignbit_b32 v2, v8, v8, 7
	v_alignbit_b32 v10, v8, v8, 18
	v_xor_b32_e32 v16, v4, v11
	v_alignbit_b32 v23, v12, v12, 11
	v_alignbit_b32 v24, v12, v12, 25
	v_bitop3_b32 v25, v12, v21, v17 bitop3:0xac
	v_xor_b32_e32 v2, v10, v2
	v_bfi_b32 v16, v16, v19, v11
	v_alignbit_b32 v10, v3, v3, 17
	v_xor3_b32 v18, v23, v18, v24
	v_add3_u32 v22, v1, v22, v25
	v_lshrrev_b32_e32 v3, 10, v3
	v_add3_u32 v13, v14, v16, v13
	v_xad_u32 v2, v2, v20, v9
	s_delay_alu instid0(VALU_DEP_4) | instskip(NEXT) | instid1(VALU_DEP_4)
	v_add3_u32 v9, v22, v18, 0x90befffa
	v_xor3_b32 v3, v26, v10, v3
	s_delay_alu instid0(VALU_DEP_4)
	v_alignbit_b32 v10, v13, v13, 2
	v_alignbit_b32 v14, v13, v13, 13
	;; [unrolled: 1-line block ×3, first 2 shown]
	v_add_nc_u32_e32 v18, v9, v19
	v_add3_u32 v0, v2, v0, v3
	v_alignbit_b32 v2, v7, v7, 7
	v_alignbit_b32 v22, v7, v7, 18
	v_xor3_b32 v3, v14, v10, v16
	v_xor_b32_e32 v10, v11, v13
	v_alignbit_b32 v14, v18, v18, 6
	v_alignbit_b32 v16, v18, v18, 11
	;; [unrolled: 1-line block ×3, first 2 shown]
	v_bitop3_b32 v20, v18, v17, v12 bitop3:0xac
	v_bfi_b32 v10, v10, v4, v13
	v_dual_lshrrev_b32 v23, 3, v7 :: v_dual_bitop2_b32 v2, v22, v2 bitop3:0x14
	s_delay_alu instid0(VALU_DEP_4) | instskip(NEXT) | instid1(VALU_DEP_4)
	v_xor3_b32 v14, v16, v14, v19
	v_add3_u32 v16, v0, v21, v20
	s_delay_alu instid0(VALU_DEP_4)
	v_add3_u32 v19, v3, v10, v9
	v_alignbit_b32 v3, v1, v1, 17
	v_alignbit_b32 v9, v1, v1, 19
	v_lshrrev_b32_e32 v1, 10, v1
	v_add3_u32 v10, v16, v14, 0xa4506ceb
	v_alignbit_b32 v14, v19, v19, 2
	v_alignbit_b32 v16, v19, v19, 13
	v_alignbit_b32 v20, v19, v19, 22
	v_xor3_b32 v1, v9, v3, v1
	v_dual_add_nc_u32 v29, v10, v4 :: v_dual_bitop2_b32 v9, v13, v19 bitop3:0x14
	v_xad_u32 v2, v2, v23, v8
	s_delay_alu instid0(VALU_DEP_4) | instskip(SKIP_1) | instid1(VALU_DEP_4)
	v_xor3_b32 v4, v16, v14, v20
	v_alignbit_b32 v3, v6, v6, 7
	v_alignbit_b32 v8, v29, v29, 6
	;; [unrolled: 1-line block ×4, first 2 shown]
	v_bitop3_b32 v20, v29, v12, v18 bitop3:0xac
	v_add3_u32 v1, v2, v15, v1
	v_bfi_b32 v2, v9, v11, v19
	v_alignbit_b32 v9, v6, v6, 18
	v_xor3_b32 v8, v14, v8, v16
	v_lshrrev_b32_e32 v6, 3, v6
	v_add3_u32 v1, v1, v17, v20
	v_add3_u32 v14, v4, v2, v10
	v_alignbit_b32 v2, v0, v0, 17
	v_alignbit_b32 v4, v0, v0, 19
	v_lshrrev_b32_e32 v0, 10, v0
	v_add3_u32 v1, v1, v8, 0xbef9a3f7
	v_xor_b32_e32 v3, v9, v3
	v_alignbit_b32 v8, v14, v14, 2
	v_alignbit_b32 v10, v14, v14, 13
	;; [unrolled: 1-line block ×3, first 2 shown]
	v_dual_add_nc_u32 v17, v1, v11 :: v_dual_bitop2_b32 v16, v19, v14 bitop3:0x14
	v_xor3_b32 v0, v4, v2, v0
	v_xad_u32 v3, v3, v6, v7
	s_delay_alu instid0(VALU_DEP_4) | instskip(NEXT) | instid1(VALU_DEP_4)
	v_xor3_b32 v2, v10, v8, v15
	v_bfi_b32 v4, v16, v13, v14
	v_alignbit_b32 v6, v17, v17, 6
	v_alignbit_b32 v7, v17, v17, 11
	;; [unrolled: 1-line block ×3, first 2 shown]
	v_bitop3_b32 v9, v17, v18, v29 bitop3:0xac
	v_add3_u32 v0, v3, v5, v0
	v_add3_u32 v15, v2, v4, v1
	v_add_nc_u32_e32 v10, 0x3c6ef372, v14
	v_xor3_b32 v1, v7, v6, v8
	v_add_nc_u32_e32 v30, 0x1d7cbe8d, v18
	v_add3_u32 v0, v0, v12, v9
	v_alignbit_b32 v2, v15, v15, 2
	v_alignbit_b32 v3, v15, v15, 13
	;; [unrolled: 1-line block ×3, first 2 shown]
	v_add_nc_u32_e32 v9, 0xbb67ae85, v15
	v_add3_u32 v6, v0, v1, 0xc67178f2
	v_xor_b32_e32 v5, v14, v15
	v_alignbit_b32 v24, v10, v10, 18
	v_xor3_b32 v0, v3, v2, v4
	v_add_nc_u32_e32 v2, 0xa54ff53a, v19
	v_add_nc_u32_e32 v13, v13, v6
	v_bfi_b32 v1, v5, v19, v15
	s_delay_alu instid0(VALU_DEP_1) | instskip(SKIP_3) | instid1(VALU_DEP_4)
	v_add3_u32 v12, v1, v0, v6
	v_add_nc_u32_e32 v0, 0x1f83d9ab, v29
	v_dual_mov_b32 v18, 0 :: v_dual_add_nc_u32 v1, 0x5be0cd19, v18
	v_alignbit_b32 v16, v9, v9, 18
	v_add_nc_u32_e32 v8, 0x6a09e667, v12
	s_delay_alu instid0(VALU_DEP_4) | instskip(SKIP_4) | instid1(VALU_DEP_4)
	v_alignbit_b32 v3, v0, v0, 17
	v_alignbit_b32 v4, v0, v0, 19
	v_lshrrev_b32_e32 v5, 10, v0
	v_alignbit_b32 v7, v1, v1, 17
	v_alignbit_b32 v11, v1, v1, 19
	v_dual_lshrrev_b32 v22, 3, v8 :: v_dual_bitop2_b32 v6, v4, v3 bitop3:0x14
	v_alignbit_b32 v20, v8, v8, 7
	v_alignbit_b32 v21, v8, v8, 18
	s_delay_alu instid0(VALU_DEP_4)
	v_xor_b32_e32 v7, v11, v7
	v_alignbit_b32 v11, v9, v9, 7
	v_xad_u32 v5, v6, v5, v9
	v_lshrrev_b32_e32 v6, 10, v1
	v_lshrrev_b32_e32 v23, 3, v9
	v_add_nc_u32_e32 v3, 0x510e527f, v13
	v_xor_b32_e32 v11, v16, v11
	v_alignbit_b32 v16, v10, v10, 7
	v_xad_u32 v6, v7, v6, v10
	v_xor3_b32 v7, v21, v20, v22
	v_alignbit_b32 v20, v2, v2, 7
	v_xad_u32 v8, v11, v23, v8
	v_dual_lshrrev_b32 v11, 3, v10 :: v_dual_bitop2_b32 v16, v24, v16 bitop3:0x14
	v_alignbit_b32 v21, v2, v2, 18
	v_add_nc_u32_e32 v4, 0x9b05688c, v17
	v_alignbit_b32 v22, v3, v3, 7
	v_alignbit_b32 v23, v3, v3, 18
	v_xad_u32 v9, v16, v11, v9
	v_dual_lshrrev_b32 v11, 3, v2 :: v_dual_bitop2_b32 v16, v21, v20 bitop3:0x14
	s_delay_alu instid0(VALU_DEP_3)
	v_dual_lshrrev_b32 v20, 3, v3 :: v_dual_bitop2_b32 v21, v23, v22 bitop3:0x14
	v_alignbit_b32 v22, v4, v4, 7
	v_alignbit_b32 v23, v4, v4, 18
	;; [unrolled: 1-line block ×4, first 2 shown]
	v_xad_u32 v10, v16, v11, v10
	v_mov_b32_e32 v16, 0
	v_alignbit_b32 v27, v1, v1, 7
	v_alignbit_b32 v28, v1, v1, 18
	v_dual_lshrrev_b32 v24, 3, v4 :: v_dual_bitop2_b32 v22, v23, v22 bitop3:0x14
	v_dual_lshrrev_b32 v23, 3, v0 :: v_dual_bitop2_b32 v25, v26, v25 bitop3:0x14
	s_delay_alu instid0(VALU_DEP_3) | instskip(SKIP_1) | instid1(VALU_DEP_4)
	v_dual_lshrrev_b32 v26, 3, v1 :: v_dual_bitop2_b32 v27, v28, v27 bitop3:0x14
	v_xad_u32 v11, v21, v20, v2
	v_xad_u32 v20, v22, v24, v3
	s_delay_alu instid0(VALU_DEP_4)
	v_xad_u32 v21, v25, v23, v4
	v_add_nc_u32_e32 v23, 0x421190ff, v12
	v_xad_u32 v22, v27, v26, v0
	v_add_nc_u32_e32 v24, 0xcdeb0986, v15
	v_add_nc_u32_e32 v25, 0x60a07930, v14
	v_add_nc_u32_e32 v26, 0xfa5c72fd, v19
	v_add_nc_u32_e32 v27, 0xc3ccaff3, v13
	v_add_nc_u32_e32 v28, 0x1be41a8a, v17
	v_dual_mov_b32 v12, 0 :: v_dual_add_nc_u32 v29, 0xbb5fe052, v29
	v_dual_mov_b32 v14, 0 :: v_dual_mov_b32 v13, 0
	v_dual_mov_b32 v15, 0 :: v_dual_mov_b32 v19, 0
	v_mov_b32_e32 v17, 0
.LBB0_4:                                ; =>This Inner Loop Header: Depth=1
	s_delay_alu instid0(VALU_DEP_1)
	v_add_nc_u32_e32 v31, 0x98c7e2a2, v17
	v_alignbit_b32 v48, v18, v18, 7
	v_alignbit_b32 v59, v14, v14, 18
	s_add_nc_u64 s[38:39], s[2:3], s[36:37]
	s_add_nc_u64 s[36:37], s[36:37], 0x100
	v_alignbit_b32 v32, v31, v31, 6
	v_alignbit_b32 v33, v31, v31, 11
	;; [unrolled: 1-line block ×3, first 2 shown]
	v_bitop3_b32 v35, v31, s33, 0xca0b3af3 bitop3:0x6c
	s_load_b512 s[4:19], s[38:39], 0x10
	s_cmp_lg_u32 s36, 0x10000000
	v_lshrrev_b32_e32 v60, 3, v14
	v_xor3_b32 v32, v33, v32, v34
	v_add_nc_u32_e32 v33, 0xfc08884d, v17
	s_delay_alu instid0(VALU_DEP_2) | instskip(NEXT) | instid1(VALU_DEP_2)
	v_add3_u32 v32, v16, v35, v32
	v_alignbit_b32 v35, v33, v33, 2
	v_alignbit_b32 v36, v33, v33, 13
	;; [unrolled: 1-line block ×3, first 2 shown]
	v_and_b32_e32 v38, 0xd16e48e2, v33
	v_add_nc_u32_e32 v34, 0xcd2a11ae, v32
	s_delay_alu instid0(VALU_DEP_4) | instskip(NEXT) | instid1(VALU_DEP_2)
	v_xor_b32_e32 v35, v36, v35
	v_alignbit_b32 v39, v34, v34, 6
	v_alignbit_b32 v40, v34, v34, 11
	;; [unrolled: 1-line block ×3, first 2 shown]
	v_bitop3_b32 v36, v34, 0x510e527f, v31 bitop3:0xac
	v_xad_u32 v35, v35, v37, v38
	s_delay_alu instid0(VALU_DEP_3) | instskip(NEXT) | instid1(VALU_DEP_2)
	v_xor3_b32 v39, v40, v39, v41
	v_add3_u32 v32, v32, v35, 0xbabcc441
	s_delay_alu instid0(VALU_DEP_2) | instskip(NEXT) | instid1(VALU_DEP_2)
	v_add3_u32 v36, v19, v36, v39
	v_alignbit_b32 v37, v32, v32, 2
	v_alignbit_b32 v38, v32, v32, 13
	v_xor_b32_e32 v40, v33, v32
	s_delay_alu instid0(VALU_DEP_4) | instskip(SKIP_1) | instid1(VALU_DEP_4)
	v_add_nc_u32_e32 v35, 0xc2e12e0, v36
	v_alignbit_b32 v39, v32, v32, 22
	v_xor_b32_e32 v37, v38, v37
	s_delay_alu instid0(VALU_DEP_4) | instskip(NEXT) | instid1(VALU_DEP_4)
	v_bfi_b32 v38, v40, 0x6a09e667, v32
	v_alignbit_b32 v41, v35, v35, 6
	v_alignbit_b32 v42, v35, v35, 11
	v_alignbit_b32 v43, v35, v35, 25
	v_bitop3_b32 v31, v35, v31, v34 bitop3:0xac
	v_xad_u32 v37, v37, v39, v38
	s_delay_alu instid0(VALU_DEP_3) | instskip(NEXT) | instid1(VALU_DEP_2)
	v_xor3_b32 v40, v42, v41, v43
	v_add3_u32 v36, v36, v37, 0x50c6645b
	s_delay_alu instid0(VALU_DEP_2) | instskip(NEXT) | instid1(VALU_DEP_2)
	v_add3_u32 v31, v18, v31, v40
	v_alignbit_b32 v38, v36, v36, 2
	v_alignbit_b32 v39, v36, v36, 13
	v_xor_b32_e32 v40, v32, v36
	s_delay_alu instid0(VALU_DEP_4) | instskip(SKIP_1) | instid1(VALU_DEP_4)
	v_add_nc_u32_e32 v37, 0xa4ce148b, v31
	v_alignbit_b32 v45, v36, v36, 22
	v_xor_b32_e32 v38, v39, v38
	s_delay_alu instid0(VALU_DEP_4) | instskip(NEXT) | instid1(VALU_DEP_4)
	v_bfi_b32 v39, v40, v33, v36
	v_alignbit_b32 v41, v37, v37, 6
	v_alignbit_b32 v42, v37, v37, 11
	;; [unrolled: 1-line block ×3, first 2 shown]
	v_bitop3_b32 v44, v37, v34, v35 bitop3:0xac
	v_xad_u32 v38, v38, v45, v39
	s_delay_alu instid0(VALU_DEP_3) | instskip(NEXT) | instid1(VALU_DEP_3)
	v_xor3_b32 v40, v42, v41, v43
	v_add3_u32 v41, v17, v15, v44
	s_delay_alu instid0(VALU_DEP_3) | instskip(NEXT) | instid1(VALU_DEP_2)
	v_add3_u32 v31, v31, v38, 0x3ac42e24
	v_add3_u32 v39, v41, v40, 0xd21ea4fd
	s_delay_alu instid0(VALU_DEP_2) | instskip(SKIP_2) | instid1(VALU_DEP_4)
	v_alignbit_b32 v38, v31, v31, 2
	v_alignbit_b32 v44, v31, v31, 13
	;; [unrolled: 1-line block ×3, first 2 shown]
	v_dual_add_nc_u32 v33, v39, v33 :: v_dual_bitop2_b32 v46, v36, v31 bitop3:0x14
	s_delay_alu instid0(VALU_DEP_2) | instskip(NEXT) | instid1(VALU_DEP_2)
	v_xor3_b32 v38, v44, v38, v45
	v_alignbit_b32 v40, v33, v33, 6
	v_alignbit_b32 v41, v33, v33, 11
	;; [unrolled: 1-line block ×3, first 2 shown]
	v_bitop3_b32 v43, v33, v35, v37 bitop3:0xac
	s_delay_alu instid0(VALU_DEP_2) | instskip(NEXT) | instid1(VALU_DEP_2)
	v_xor3_b32 v40, v41, v40, v42
	v_add3_u32 v34, v13, v34, v43
	v_bfi_b32 v41, v46, v32, v31
	s_delay_alu instid0(VALU_DEP_2) | instskip(NEXT) | instid1(VALU_DEP_2)
	v_add3_u32 v34, v34, v40, 0x59f111f1
	v_add3_u32 v38, v38, v41, v39
	s_delay_alu instid0(VALU_DEP_2) | instskip(NEXT) | instid1(VALU_DEP_2)
	v_add_nc_u32_e32 v32, v34, v32
	v_alignbit_b32 v39, v38, v38, 2
	v_alignbit_b32 v44, v38, v38, 13
	v_alignbit_b32 v45, v38, v38, 22
	v_xor_b32_e32 v46, v31, v38
	v_alignbit_b32 v40, v32, v32, 6
	v_alignbit_b32 v41, v32, v32, 11
	;; [unrolled: 1-line block ×3, first 2 shown]
	v_bitop3_b32 v43, v32, v37, v33 bitop3:0xac
	v_xor3_b32 v39, v44, v39, v45
	s_delay_alu instid0(VALU_DEP_3) | instskip(NEXT) | instid1(VALU_DEP_3)
	v_xor3_b32 v40, v41, v40, v42
	v_add3_u32 v35, v14, v35, v43
	v_bfi_b32 v41, v46, v36, v38
	s_delay_alu instid0(VALU_DEP_2) | instskip(NEXT) | instid1(VALU_DEP_2)
	v_add3_u32 v35, v35, v40, 0x923f82a4
	v_add3_u32 v34, v39, v41, v34
	s_delay_alu instid0(VALU_DEP_2) | instskip(NEXT) | instid1(VALU_DEP_2)
	v_add_nc_u32_e32 v36, v35, v36
	v_alignbit_b32 v39, v34, v34, 2
	v_alignbit_b32 v44, v34, v34, 13
	;; [unrolled: 1-line block ×3, first 2 shown]
	v_xor_b32_e32 v46, v38, v34
	v_alignbit_b32 v40, v36, v36, 6
	v_alignbit_b32 v41, v36, v36, 11
	;; [unrolled: 1-line block ×3, first 2 shown]
	v_bitop3_b32 v43, v36, v33, v32 bitop3:0xac
	v_xor3_b32 v39, v44, v39, v45
	v_add_nc_u32_e32 v33, v23, v33
	s_delay_alu instid0(VALU_DEP_4) | instskip(NEXT) | instid1(VALU_DEP_4)
	v_xor3_b32 v40, v41, v40, v42
	v_add3_u32 v37, v12, v37, v43
	v_bfi_b32 v41, v46, v31, v34
	s_delay_alu instid0(VALU_DEP_2) | instskip(NEXT) | instid1(VALU_DEP_2)
	v_add3_u32 v37, v37, v40, 0xab1c5ed5
	v_add3_u32 v35, v39, v41, v35
	s_delay_alu instid0(VALU_DEP_2) | instskip(NEXT) | instid1(VALU_DEP_2)
	v_add_nc_u32_e32 v31, v37, v31
	v_alignbit_b32 v39, v35, v35, 2
	v_alignbit_b32 v43, v35, v35, 13
	;; [unrolled: 1-line block ×3, first 2 shown]
	v_xor_b32_e32 v45, v34, v35
	v_alignbit_b32 v40, v31, v31, 6
	v_alignbit_b32 v41, v31, v31, 11
	;; [unrolled: 1-line block ×3, first 2 shown]
	v_bitop3_b32 v46, v31, v32, v36 bitop3:0xac
	v_xor3_b32 v39, v43, v39, v44
	v_add_nc_u32_e32 v32, v24, v32
	s_delay_alu instid0(VALU_DEP_4) | instskip(SKIP_1) | instid1(VALU_DEP_2)
	v_xor3_b32 v40, v41, v40, v42
	v_bfi_b32 v41, v45, v38, v35
	v_add3_u32 v33, v33, v46, v40
	s_delay_alu instid0(VALU_DEP_2) | instskip(NEXT) | instid1(VALU_DEP_2)
	v_add3_u32 v37, v39, v41, v37
	v_add_nc_u32_e32 v38, v33, v38
	s_delay_alu instid0(VALU_DEP_2)
	v_alignbit_b32 v39, v37, v37, 2
	v_alignbit_b32 v43, v37, v37, 13
	;; [unrolled: 1-line block ×3, first 2 shown]
	v_xor_b32_e32 v45, v35, v37
	v_alignbit_b32 v40, v38, v38, 6
	v_alignbit_b32 v41, v38, v38, 11
	;; [unrolled: 1-line block ×3, first 2 shown]
	v_bitop3_b32 v46, v38, v36, v31 bitop3:0xac
	v_xor3_b32 v39, v43, v39, v44
	v_add_nc_u32_e32 v36, v25, v36
	s_delay_alu instid0(VALU_DEP_4) | instskip(SKIP_1) | instid1(VALU_DEP_2)
	v_xor3_b32 v40, v41, v40, v42
	v_bfi_b32 v41, v45, v34, v37
	v_add3_u32 v32, v32, v46, v40
	s_delay_alu instid0(VALU_DEP_2) | instskip(NEXT) | instid1(VALU_DEP_2)
	v_add3_u32 v33, v39, v41, v33
	v_add_nc_u32_e32 v34, v32, v34
	s_delay_alu instid0(VALU_DEP_2)
	v_alignbit_b32 v39, v33, v33, 2
	v_alignbit_b32 v43, v33, v33, 13
	;; [unrolled: 1-line block ×3, first 2 shown]
	v_xor_b32_e32 v45, v37, v33
	v_alignbit_b32 v40, v34, v34, 6
	v_alignbit_b32 v41, v34, v34, 11
	;; [unrolled: 1-line block ×3, first 2 shown]
	v_bitop3_b32 v46, v34, v31, v38 bitop3:0xac
	v_xor3_b32 v39, v43, v39, v44
	v_add_nc_u32_e32 v31, v26, v31
	s_delay_alu instid0(VALU_DEP_4) | instskip(SKIP_1) | instid1(VALU_DEP_2)
	v_xor3_b32 v40, v41, v40, v42
	v_bfi_b32 v41, v45, v35, v33
	v_add3_u32 v36, v36, v46, v40
	s_delay_alu instid0(VALU_DEP_2) | instskip(SKIP_1) | instid1(VALU_DEP_3)
	v_add3_u32 v39, v39, v41, v32
	v_alignbit_b32 v40, v16, v16, 7
	v_add_nc_u32_e32 v35, v36, v35
	s_delay_alu instid0(VALU_DEP_3)
	v_alignbit_b32 v32, v39, v39, 2
	v_alignbit_b32 v44, v39, v39, 13
	;; [unrolled: 1-line block ×3, first 2 shown]
	v_xor_b32_e32 v46, v33, v39
	v_alignbit_b32 v41, v35, v35, 6
	v_alignbit_b32 v42, v35, v35, 11
	;; [unrolled: 1-line block ×3, first 2 shown]
	v_bitop3_b32 v47, v35, v38, v34 bitop3:0xac
	v_xor3_b32 v32, v44, v32, v45
	v_alignbit_b32 v45, v19, v19, 7
	s_delay_alu instid0(VALU_DEP_4)
	v_xor3_b32 v41, v42, v41, v43
	v_lshrrev_b32_e32 v43, 3, v16
	v_bfi_b32 v44, v46, v37, v39
	v_alignbit_b32 v46, v19, v19, 18
	v_alignbit_b32 v42, v16, v16, 18
	v_add3_u32 v41, v31, v47, v41
	v_lshrrev_b32_e32 v47, 3, v19
	v_add3_u32 v36, v32, v44, v36
	v_add_nc_u32_e32 v31, v19, v2
	s_delay_alu instid0(VALU_DEP_4) | instskip(SKIP_1) | instid1(VALU_DEP_4)
	v_dual_add_nc_u32 v19, v27, v38 :: v_dual_add_nc_u32 v44, v41, v37
	v_xor3_b32 v42, v42, v40, v43
	v_alignbit_b32 v32, v36, v36, 2
	v_alignbit_b32 v50, v36, v36, 13
	;; [unrolled: 1-line block ×6, first 2 shown]
	v_xor_b32_e32 v52, v39, v36
	v_bitop3_b32 v53, v44, v34, v35 bitop3:0xac
	v_xor3_b32 v50, v50, v32, v51
	v_add_nc_u32_e32 v32, v18, v3
	v_xor3_b32 v37, v38, v37, v49
	v_lshrrev_b32_e32 v49, 3, v18
	v_bfi_b32 v51, v52, v33, v36
	v_alignbit_b32 v38, v18, v18, 18
	v_alignbit_b32 v18, v15, v15, 7
	v_add3_u32 v37, v19, v53, v37
	v_alignbit_b32 v52, v15, v15, 18
	v_add3_u32 v50, v50, v51, v41
	v_add_nc_u32_e32 v19, v15, v4
	v_add3_u32 v17, v5, v17, v42
	v_dual_add_nc_u32 v51, v37, v33 :: v_dual_lshrrev_b32 v33, 3, v15
	v_add_nc_u32_e32 v15, v28, v34
	v_alignbit_b32 v34, v50, v50, 2
	v_alignbit_b32 v55, v50, v50, 13
	s_delay_alu instid0(VALU_DEP_4)
	v_alignbit_b32 v41, v51, v51, 6
	v_alignbit_b32 v53, v51, v51, 11
	;; [unrolled: 1-line block ×4, first 2 shown]
	v_bitop3_b32 v58, v51, v35, v44 bitop3:0xac
	v_xor_b32_e32 v57, v36, v50
	s_delay_alu instid0(VALU_DEP_4) | instskip(NEXT) | instid1(VALU_DEP_4)
	v_xor3_b32 v41, v53, v41, v54
	v_xor3_b32 v34, v55, v34, v56
	v_lshrrev_b32_e32 v56, 3, v13
	v_alignbit_b32 v53, v13, v13, 7
	v_alignbit_b32 v54, v13, v13, 18
	v_add3_u32 v41, v15, v58, v41
	v_add_nc_u32_e32 v15, v13, v0
	v_bfi_b32 v55, v57, v39, v50
	v_alignbit_b32 v57, v14, v14, 7
	s_delay_alu instid0(VALU_DEP_4) | instskip(NEXT) | instid1(VALU_DEP_3)
	v_add_nc_u32_e32 v58, v41, v39
	v_add3_u32 v55, v34, v55, v37
	v_add_nc_u32_e32 v34, v29, v35
	s_delay_alu instid0(VALU_DEP_3)
	v_alignbit_b32 v13, v58, v58, 6
	v_alignbit_b32 v37, v58, v58, 11
	;; [unrolled: 1-line block ×6, first 2 shown]
	v_bitop3_b32 v64, v58, v44, v51 bitop3:0xac
	v_xor3_b32 v37, v37, v13, v39
	v_add_nc_u32_e32 v13, v14, v1
	v_alignbit_b32 v14, v12, v12, 7
	v_xor3_b32 v35, v61, v35, v62
	v_alignbit_b32 v62, v12, v12, 18
	v_add3_u32 v61, v34, v64, v37
	s_delay_alu instid0(VALU_DEP_1) | instskip(NEXT) | instid1(VALU_DEP_1)
	v_dual_add_nc_u32 v37, v61, v36 :: v_dual_bitop2_b32 v63, v50, v55 bitop3:0x14
	v_bfi_b32 v39, v63, v36, v55
	s_delay_alu instid0(VALU_DEP_2) | instskip(NEXT) | instid1(VALU_DEP_2)
	v_alignbit_b32 v34, v37, v37, 6
	v_add3_u32 v40, v35, v39, v41
	v_xor3_b32 v35, v46, v45, v47
	v_xor3_b32 v39, v38, v48, v49
	v_add_nc_u32_e32 v36, v30, v44
	v_alignbit_b32 v41, v37, v37, 11
	v_alignbit_b32 v38, v40, v40, 2
	;; [unrolled: 1-line block ×4, first 2 shown]
	v_xor_b32_e32 v46, v55, v40
	v_alignbit_b32 v43, v37, v37, 25
	v_bitop3_b32 v47, v37, v51, v58 bitop3:0xac
	s_delay_alu instid0(VALU_DEP_4) | instskip(NEXT) | instid1(VALU_DEP_4)
	v_xor3_b32 v38, v44, v38, v45
	v_bfi_b32 v44, v46, v50, v40
	s_delay_alu instid0(VALU_DEP_4)
	v_xor3_b32 v43, v41, v34, v43
	v_xor3_b32 v41, v52, v18, v33
	;; [unrolled: 1-line block ×4, first 2 shown]
	v_add3_u32 v42, v38, v44, v61
	v_alignbit_b32 v44, v17, v17, 19
	s_delay_alu instid0(VALU_DEP_2)
	v_xor_b32_e32 v52, v40, v42
	v_add3_u32 v49, v36, v47, v43
	v_lshrrev_b32_e32 v63, 3, v12
	v_alignbit_b32 v47, v42, v42, 13
	v_alignbit_b32 v48, v42, v42, 22
	;; [unrolled: 1-line block ×3, first 2 shown]
	v_add_nc_u32_e32 v36, v49, v50
	v_xor3_b32 v18, v62, v14, v63
	v_add3_u32 v14, v6, v16, v35
	v_alignbit_b32 v16, v42, v42, 2
	v_lshrrev_b32_e32 v50, 10, v17
	v_alignbit_b32 v35, v36, v36, 6
	v_alignbit_b32 v38, v36, v36, 11
	v_alignbit_b32 v45, v36, v36, 25
	v_bitop3_b32 v46, v36, v58, v37 bitop3:0xac
	v_bfi_b32 v52, v52, v55, v42
	v_xor3_b32 v43, v44, v43, v50
	s_delay_alu instid0(VALU_DEP_4) | instskip(NEXT) | instid1(VALU_DEP_4)
	v_xor3_b32 v35, v38, v35, v45
	v_add3_u32 v38, v17, v51, v46
	v_xor3_b32 v51, v47, v16, v48
	s_delay_alu instid0(VALU_DEP_4)
	v_add3_u32 v31, v31, v39, v43
	v_alignbit_b32 v45, v14, v14, 17
	v_alignbit_b32 v47, v14, v14, 19
	v_add3_u32 v46, v38, v35, 0xe49b69c1
	v_add3_u32 v38, v51, v52, v49
	v_dual_lshrrev_b32 v49, 3, v17 :: v_dual_lshrrev_b32 v48, 10, v14
	v_add_nc_u32_e32 v16, v17, v7
	s_delay_alu instid0(VALU_DEP_4) | instskip(NEXT) | instid1(VALU_DEP_4)
	v_add_nc_u32_e32 v35, v46, v55
	v_alignbit_b32 v53, v38, v38, 2
	v_alignbit_b32 v59, v38, v38, 13
	;; [unrolled: 1-line block ×3, first 2 shown]
	v_xor_b32_e32 v61, v42, v38
	v_alignbit_b32 v54, v35, v35, 6
	v_alignbit_b32 v55, v35, v35, 11
	;; [unrolled: 1-line block ×3, first 2 shown]
	v_bitop3_b32 v57, v35, v37, v36 bitop3:0xac
	v_xor3_b32 v53, v59, v53, v60
	v_alignbit_b32 v51, v17, v17, 7
	v_alignbit_b32 v52, v17, v17, 18
	v_xor3_b32 v54, v55, v54, v56
	v_add3_u32 v55, v14, v58, v57
	v_bfi_b32 v58, v61, v40, v38
	v_xor3_b32 v44, v47, v45, v48
	v_alignbit_b32 v56, v14, v14, 7
	v_alignbit_b32 v57, v14, v14, 18
	v_add3_u32 v54, v55, v54, 0xefbe4786
	v_lshrrev_b32_e32 v55, 3, v14
	v_add3_u32 v45, v53, v58, v46
	s_delay_alu instid0(VALU_DEP_3) | instskip(NEXT) | instid1(VALU_DEP_2)
	v_dual_add_nc_u32 v46, v54, v40 :: v_dual_bitop2_b32 v40, v52, v51 bitop3:0x14
	v_alignbit_b32 v43, v45, v45, 2
	v_alignbit_b32 v52, v45, v45, 13
	;; [unrolled: 1-line block ×3, first 2 shown]
	s_delay_alu instid0(VALU_DEP_4) | instskip(SKIP_3) | instid1(VALU_DEP_2)
	v_alignbit_b32 v39, v46, v46, 6
	v_alignbit_b32 v48, v46, v46, 11
	;; [unrolled: 1-line block ×3, first 2 shown]
	v_bitop3_b32 v51, v46, v36, v35 bitop3:0xac
	v_xor3_b32 v48, v48, v39, v50
	s_delay_alu instid0(VALU_DEP_2)
	v_add3_u32 v37, v31, v37, v51
	v_add3_u32 v39, v32, v41, v44
	v_xor_b32_e32 v47, v57, v56
	v_xor_b32_e32 v56, v38, v45
	v_xor3_b32 v32, v52, v43, v53
	v_add3_u32 v37, v37, v48, 0xfc19dc6
	v_alignbit_b32 v43, v31, v31, 17
	v_alignbit_b32 v44, v31, v31, 19
	v_bfi_b32 v41, v56, v42, v45
	v_alignbit_b32 v48, v39, v39, 19
	v_add_nc_u32_e32 v42, v37, v42
	v_xad_u32 v40, v40, v49, v1
	s_delay_alu instid0(VALU_DEP_4) | instskip(SKIP_1) | instid1(VALU_DEP_4)
	v_add3_u32 v32, v32, v41, v54
	v_lshrrev_b32_e32 v41, 10, v31
	v_alignbit_b32 v50, v42, v42, 6
	v_alignbit_b32 v51, v42, v42, 11
	;; [unrolled: 1-line block ×3, first 2 shown]
	v_bitop3_b32 v53, v42, v35, v46 bitop3:0xac
	v_alignbit_b32 v49, v32, v32, 2
	v_alignbit_b32 v54, v32, v32, 13
	v_xor3_b32 v41, v44, v43, v41
	v_xor3_b32 v50, v51, v50, v52
	v_add3_u32 v36, v39, v36, v53
	v_lshrrev_b32_e32 v51, 10, v39
	v_xad_u32 v17, v47, v55, v17
	v_alignbit_b32 v55, v32, v32, 22
	v_alignbit_b32 v47, v39, v39, 17
	v_add3_u32 v36, v36, v50, 0x240ca1cc
	v_xor_b32_e32 v56, v45, v32
	v_alignbit_b32 v52, v31, v31, 7
	v_xor3_b32 v49, v54, v49, v55
	v_alignbit_b32 v50, v31, v31, 18
	v_alignbit_b32 v43, v39, v39, 7
	v_bfi_b32 v53, v56, v38, v32
	v_dual_add_nc_u32 v38, v36, v38 :: v_dual_lshrrev_b32 v54, 3, v31
	s_delay_alu instid0(VALU_DEP_2) | instskip(SKIP_1) | instid1(VALU_DEP_3)
	v_add3_u32 v44, v49, v53, v37
	v_add3_u32 v37, v19, v34, v41
	v_alignbit_b32 v34, v38, v38, 6
	v_alignbit_b32 v41, v38, v38, 11
	;; [unrolled: 1-line block ×3, first 2 shown]
	v_bitop3_b32 v55, v38, v46, v42 bitop3:0xac
	v_alignbit_b32 v49, v39, v39, 18
	v_alignbit_b32 v19, v44, v44, 2
	;; [unrolled: 1-line block ×3, first 2 shown]
	v_xor3_b32 v34, v41, v34, v53
	v_add3_u32 v35, v37, v35, v55
	v_alignbit_b32 v57, v44, v44, 22
	v_dual_lshrrev_b32 v53, 3, v39 :: v_dual_bitop2_b32 v58, v32, v44 bitop3:0x14
	v_xor3_b32 v41, v48, v47, v51
	s_delay_alu instid0(VALU_DEP_4) | instskip(NEXT) | instid1(VALU_DEP_4)
	v_add3_u32 v34, v35, v34, 0x2de92c6f
	v_xor3_b32 v47, v56, v19, v57
	s_delay_alu instid0(VALU_DEP_4) | instskip(SKIP_1) | instid1(VALU_DEP_4)
	v_bfi_b32 v48, v58, v45, v44
	v_xor_b32_e32 v35, v50, v52
	v_dual_add_nc_u32 v45, v34, v45 :: v_dual_bitop2_b32 v43, v49, v43 bitop3:0x14
	v_add3_u32 v19, v15, v33, v41
	s_delay_alu instid0(VALU_DEP_4) | instskip(NEXT) | instid1(VALU_DEP_4)
	v_add3_u32 v47, v47, v48, v36
	v_xad_u32 v41, v35, v54, v14
	v_alignbit_b32 v15, v37, v37, 17
	v_alignbit_b32 v35, v45, v45, 6
	;; [unrolled: 1-line block ×4, first 2 shown]
	v_bitop3_b32 v49, v45, v42, v38 bitop3:0xac
	v_alignbit_b32 v33, v47, v47, 2
	v_alignbit_b32 v50, v47, v47, 13
	;; [unrolled: 1-line block ×3, first 2 shown]
	v_xor3_b32 v35, v36, v35, v48
	v_add3_u32 v36, v19, v46, v49
	v_alignbit_b32 v46, v37, v37, 19
	v_lshrrev_b32_e32 v48, 10, v37
	v_xor3_b32 v33, v50, v33, v51
	v_xad_u32 v43, v43, v53, v31
	v_add3_u32 v35, v36, v35, 0x4a7484aa
	v_xor_b32_e32 v52, v44, v47
	v_xor3_b32 v46, v46, v15, v48
	v_alignbit_b32 v36, v19, v19, 17
	v_alignbit_b32 v50, v19, v19, 19
	;; [unrolled: 1-line block ×3, first 2 shown]
	v_bfi_b32 v49, v52, v32, v47
	v_add_nc_u32_e32 v32, v35, v32
	s_delay_alu instid0(VALU_DEP_2) | instskip(SKIP_1) | instid1(VALU_DEP_3)
	v_add3_u32 v48, v33, v49, v34
	v_add3_u32 v33, v13, v18, v46
	v_alignbit_b32 v18, v32, v32, 6
	v_alignbit_b32 v46, v32, v32, 11
	;; [unrolled: 1-line block ×3, first 2 shown]
	v_bitop3_b32 v51, v32, v38, v45 bitop3:0xac
	v_dual_lshrrev_b32 v34, 10, v19 :: v_dual_bitop2_b32 v54, v47, v48 bitop3:0x14
	v_alignbit_b32 v13, v48, v48, 2
	s_delay_alu instid0(VALU_DEP_4) | instskip(NEXT) | instid1(VALU_DEP_4)
	v_xor3_b32 v18, v46, v18, v49
	v_add3_u32 v42, v33, v42, v51
	v_alignbit_b32 v52, v48, v48, 13
	v_alignbit_b32 v53, v48, v48, 22
	v_xor3_b32 v34, v50, v36, v34
	v_bfi_b32 v49, v54, v44, v48
	v_add3_u32 v18, v42, v18, 0x5cb0a9dc
	v_alignbit_b32 v46, v37, v37, 18
	v_xor3_b32 v13, v52, v13, v53
	v_add3_u32 v36, v16, v12, v34
	s_delay_alu instid0(VALU_DEP_4) | instskip(SKIP_1) | instid1(VALU_DEP_4)
	v_dual_lshrrev_b32 v34, 10, v33 :: v_dual_add_nc_u32 v42, v18, v44
	v_alignbit_b32 v12, v33, v33, 17
	v_add3_u32 v13, v13, v49, v35
	v_alignbit_b32 v16, v33, v33, 19
	v_alignbit_b32 v35, v36, v36, 17
	;; [unrolled: 1-line block ×5, first 2 shown]
	v_bitop3_b32 v53, v42, v45, v32 bitop3:0xac
	v_alignbit_b32 v49, v13, v13, 2
	v_alignbit_b32 v54, v13, v13, 13
	;; [unrolled: 1-line block ×3, first 2 shown]
	v_xor_b32_e32 v56, v48, v13
	v_xor3_b32 v50, v51, v50, v52
	v_add3_u32 v38, v36, v38, v53
	v_lshrrev_b32_e32 v51, 10, v36
	v_xor3_b32 v12, v16, v12, v34
	v_xor3_b32 v16, v54, v49, v55
	v_bfi_b32 v49, v56, v47, v13
	v_add3_u32 v50, v38, v50, 0x76f988da
	v_alignbit_b32 v44, v36, v36, 19
	v_add3_u32 v34, v8, v14, v12
	v_lshrrev_b32_e32 v12, 3, v37
	v_add3_u32 v14, v16, v49, v18
	v_add_nc_u32_e32 v18, v50, v47
	v_xor3_b32 v35, v44, v35, v51
	v_alignbit_b32 v16, v34, v34, 17
	s_delay_alu instid0(VALU_DEP_4) | instskip(NEXT) | instid1(VALU_DEP_4)
	v_alignbit_b32 v52, v14, v14, 13
	v_alignbit_b32 v44, v18, v18, 6
	v_alignbit_b32 v47, v18, v18, 11
	v_alignbit_b32 v49, v18, v18, 25
	v_bitop3_b32 v51, v18, v32, v42 bitop3:0xac
	v_add3_u32 v38, v9, v31, v35
	v_alignbit_b32 v35, v14, v14, 2
	v_alignbit_b32 v53, v14, v14, 22
	v_xor3_b32 v44, v47, v44, v49
	v_add3_u32 v45, v34, v45, v51
	v_alignbit_b32 v31, v34, v34, 19
	v_lshrrev_b32_e32 v47, 10, v34
	v_xor3_b32 v35, v52, v35, v53
	v_alignbit_b32 v49, v38, v38, 17
	v_add3_u32 v44, v45, v44, 0x983e5152
	v_xor_b32_e32 v54, v13, v14
	v_alignbit_b32 v45, v38, v38, 19
	v_xor3_b32 v16, v31, v16, v47
	s_delay_alu instid0(VALU_DEP_3) | instskip(SKIP_1) | instid1(VALU_DEP_2)
	v_bfi_b32 v51, v54, v48, v14
	v_add_nc_u32_e32 v48, v44, v48
	v_add3_u32 v47, v35, v51, v50
	v_lshrrev_b32_e32 v52, 10, v38
	s_delay_alu instid0(VALU_DEP_3)
	v_alignbit_b32 v51, v48, v48, 25
	v_add3_u32 v35, v10, v39, v16
	v_alignbit_b32 v50, v19, v19, 7
	v_xor_b32_e32 v55, v14, v47
	v_xor3_b32 v31, v45, v49, v52
	v_alignbit_b32 v45, v48, v48, 6
	v_alignbit_b32 v49, v48, v48, 11
	v_bitop3_b32 v52, v48, v42, v18 bitop3:0xac
	v_alignbit_b32 v16, v47, v47, 2
	v_alignbit_b32 v53, v47, v47, 13
	;; [unrolled: 1-line block ×3, first 2 shown]
	v_xor3_b32 v45, v49, v45, v51
	v_add3_u32 v49, v38, v32, v52
	v_add3_u32 v32, v11, v37, v31
	v_alignbit_b32 v31, v35, v35, 17
	v_xor3_b32 v16, v53, v16, v54
	v_bfi_b32 v51, v55, v13, v47
	v_add3_u32 v45, v49, v45, 0xa831c66d
	v_alignbit_b32 v49, v35, v35, 19
	v_lshrrev_b32_e32 v52, 10, v35
	v_alignbit_b32 v53, v32, v32, 17
	v_add3_u32 v44, v16, v51, v44
	v_dual_add_nc_u32 v13, v45, v13 :: v_dual_lshrrev_b32 v51, 10, v32
	s_delay_alu instid0(VALU_DEP_4) | instskip(SKIP_1) | instid1(VALU_DEP_4)
	v_xor3_b32 v31, v49, v31, v52
	v_alignbit_b32 v16, v32, v32, 19
	v_alignbit_b32 v49, v44, v44, 2
	s_delay_alu instid0(VALU_DEP_4)
	v_alignbit_b32 v52, v13, v13, 6
	v_alignbit_b32 v54, v13, v13, 11
	v_alignbit_b32 v55, v13, v13, 25
	v_bitop3_b32 v56, v13, v18, v48 bitop3:0xac
	v_alignbit_b32 v57, v44, v44, 13
	v_alignbit_b32 v58, v44, v44, 22
	v_xor_b32_e32 v59, v47, v44
	v_xor3_b32 v52, v54, v52, v55
	v_add3_u32 v42, v35, v42, v56
	v_xor3_b32 v16, v16, v53, v51
	v_xor3_b32 v49, v57, v49, v58
	v_add3_u32 v31, v20, v19, v31
	v_alignbit_b32 v53, v19, v19, 18
	v_add3_u32 v42, v42, v52, 0xb00327c8
	v_lshrrev_b32_e32 v52, 3, v19
	v_bfi_b32 v51, v59, v14, v44
	v_add3_u32 v16, v21, v33, v16
	s_delay_alu instid0(VALU_DEP_2) | instskip(SKIP_2) | instid1(VALU_DEP_4)
	v_add3_u32 v45, v49, v51, v45
	v_add_nc_u32_e32 v49, v42, v14
	v_alignbit_b32 v14, v31, v31, 17
	v_alignbit_b32 v51, v16, v16, 17
	;; [unrolled: 1-line block ×3, first 2 shown]
	v_xor_b32_e32 v61, v44, v45
	v_alignbit_b32 v56, v49, v49, 6
	v_alignbit_b32 v57, v49, v49, 11
	;; [unrolled: 1-line block ×3, first 2 shown]
	v_bitop3_b32 v59, v49, v48, v13 bitop3:0xac
	v_alignbit_b32 v54, v45, v45, 2
	v_alignbit_b32 v55, v45, v45, 13
	v_alignbit_b32 v60, v45, v45, 22
	v_xor3_b32 v56, v57, v56, v58
	v_add3_u32 v18, v32, v18, v59
	v_lshrrev_b32_e32 v57, 10, v16
	v_alignbit_b32 v58, v31, v31, 19
	v_xor3_b32 v54, v55, v54, v60
	v_bfi_b32 v55, v61, v47, v45
	v_add3_u32 v56, v18, v56, 0xbf597fc7
	v_lshrrev_b32_e32 v18, 10, v31
	s_delay_alu instid0(VALU_DEP_3) | instskip(SKIP_1) | instid1(VALU_DEP_3)
	v_add3_u32 v54, v54, v55, v42
	v_xor3_b32 v42, v62, v51, v57
	v_xor3_b32 v14, v58, v14, v18
	s_delay_alu instid0(VALU_DEP_3) | instskip(SKIP_1) | instid1(VALU_DEP_3)
	v_alignbit_b32 v51, v54, v54, 13
	v_alignbit_b32 v55, v54, v54, 22
	v_add3_u32 v18, v22, v36, v14
	v_xor_b32_e32 v15, v46, v15
	v_dual_add_nc_u32 v46, v56, v47 :: v_dual_bitop2_b32 v61, v45, v54 bitop3:0x14
	v_alignbit_b32 v47, v54, v54, 2
	s_delay_alu instid0(VALU_DEP_3) | instskip(NEXT) | instid1(VALU_DEP_3)
	v_xad_u32 v12, v15, v12, v39
	v_alignbit_b32 v57, v46, v46, 6
	v_alignbit_b32 v58, v46, v46, 11
	;; [unrolled: 1-line block ×3, first 2 shown]
	v_bitop3_b32 v60, v46, v13, v49 bitop3:0xac
	v_xor3_b32 v14, v51, v47, v55
	v_bfi_b32 v51, v61, v44, v54
	v_add3_u32 v15, v40, v34, v42
	v_xor3_b32 v47, v58, v57, v59
	v_add3_u32 v48, v31, v48, v60
	v_alignbit_b32 v42, v18, v18, 17
	v_add3_u32 v51, v14, v51, v56
	v_alignbit_b32 v14, v18, v18, 19
	s_delay_alu instid0(VALU_DEP_4) | instskip(SKIP_1) | instid1(VALU_DEP_4)
	v_add3_u32 v39, v48, v47, 0xc6e00bf3
	v_lshrrev_b32_e32 v47, 10, v18
	v_alignbit_b32 v55, v51, v51, 13
	v_alignbit_b32 v56, v51, v51, 22
	s_delay_alu instid0(VALU_DEP_4) | instskip(SKIP_3) | instid1(VALU_DEP_4)
	v_dual_add_nc_u32 v40, v39, v44 :: v_dual_bitop2_b32 v57, v54, v51 bitop3:0x14
	v_alignbit_b32 v44, v51, v51, 2
	v_alignbit_b32 v48, v15, v15, 17
	v_xor3_b32 v14, v14, v42, v47
	v_alignbit_b32 v58, v40, v40, 6
	v_alignbit_b32 v59, v40, v40, 11
	;; [unrolled: 1-line block ×3, first 2 shown]
	v_bitop3_b32 v61, v40, v49, v46 bitop3:0xac
	v_xor3_b32 v44, v55, v44, v56
	v_bfi_b32 v55, v57, v45, v51
	v_alignbit_b32 v56, v15, v15, 19
	v_xor3_b32 v57, v59, v58, v60
	v_add3_u32 v13, v16, v13, v61
	v_add3_u32 v17, v17, v38, v14
	;; [unrolled: 1-line block ×3, first 2 shown]
	v_alignbit_b32 v55, v33, v33, 7
	s_delay_alu instid0(VALU_DEP_4) | instskip(SKIP_1) | instid1(VALU_DEP_4)
	v_add3_u32 v13, v13, v57, 0xd5a79147
	v_lshrrev_b32_e32 v58, 10, v15
	v_alignbit_b32 v44, v39, v39, 2
	v_alignbit_b32 v47, v39, v39, 13
	;; [unrolled: 1-line block ×3, first 2 shown]
	v_add_nc_u32_e32 v45, v13, v45
	v_xor3_b32 v42, v56, v48, v58
	v_alignbit_b32 v48, v39, v39, 22
	v_alignbit_b32 v58, v17, v17, 19
	s_delay_alu instid0(VALU_DEP_4) | instskip(NEXT) | instid1(VALU_DEP_4)
	v_bitop3_b32 v56, v45, v46, v40 bitop3:0xac
	v_add3_u32 v14, v41, v35, v42
	v_xor_b32_e32 v41, v51, v39
	v_xor3_b32 v42, v47, v44, v48
	v_alignbit_b32 v44, v45, v45, 6
	v_alignbit_b32 v47, v45, v45, 11
	;; [unrolled: 1-line block ×3, first 2 shown]
	v_bfi_b32 v41, v41, v54, v39
	s_delay_alu instid0(VALU_DEP_2) | instskip(SKIP_1) | instid1(VALU_DEP_3)
	v_xor3_b32 v44, v47, v44, v48
	v_add3_u32 v47, v18, v49, v56
	v_add3_u32 v42, v42, v41, v13
	v_lshrrev_b32_e32 v13, 10, v17
	v_alignbit_b32 v41, v14, v14, 17
	v_alignbit_b32 v48, v14, v14, 19
	v_add3_u32 v47, v47, v44, 0x6ca6351
	v_alignbit_b32 v49, v42, v42, 2
	v_alignbit_b32 v56, v42, v42, 13
	v_alignbit_b32 v59, v42, v42, 22
	v_xor3_b32 v13, v58, v57, v13
	v_add_nc_u32_e32 v44, v47, v54
	s_delay_alu instid0(VALU_DEP_3) | instskip(NEXT) | instid1(VALU_DEP_3)
	v_xor3_b32 v49, v56, v49, v59
	v_add3_u32 v13, v43, v32, v13
	v_xor_b32_e32 v60, v39, v42
	s_delay_alu instid0(VALU_DEP_4) | instskip(SKIP_2) | instid1(VALU_DEP_1)
	v_alignbit_b32 v57, v44, v44, 6
	v_alignbit_b32 v58, v44, v44, 11
	;; [unrolled: 1-line block ×3, first 2 shown]
	v_xor3_b32 v43, v58, v57, v59
	v_lshrrev_b32_e32 v58, 10, v13
	v_bfi_b32 v56, v60, v51, v42
	v_bitop3_b32 v60, v44, v40, v45 bitop3:0xac
	v_alignbit_b32 v57, v13, v13, 19
	s_delay_alu instid0(VALU_DEP_2) | instskip(NEXT) | instid1(VALU_DEP_1)
	v_add3_u32 v46, v15, v46, v60
	v_add3_u32 v46, v46, v43, 0x14292967
	v_alignbit_b32 v43, v33, v33, 18
	v_lshrrev_b32_e32 v54, 10, v14
	s_delay_alu instid0(VALU_DEP_1) | instskip(SKIP_3) | instid1(VALU_DEP_4)
	v_xor3_b32 v48, v48, v41, v54
	v_add3_u32 v41, v49, v56, v47
	v_dual_lshrrev_b32 v53, 3, v33 :: v_dual_bitop2_b32 v56, v53, v50 bitop3:0x14
	v_alignbit_b32 v54, v13, v13, 17
	v_add3_u32 v12, v12, v31, v48
	v_xor_b32_e32 v50, v43, v55
	v_add_nc_u32_e32 v43, v46, v51
	v_xad_u32 v37, v56, v52, v37
	v_xor3_b32 v51, v57, v54, v58
	v_alignbit_b32 v55, v12, v12, 17
	v_alignbit_b32 v59, v12, v12, 19
	v_lshrrev_b32_e32 v60, 10, v12
	v_bitop3_b32 v58, v43, v45, v44 bitop3:0xac
	v_xad_u32 v19, v50, v53, v19
	v_alignbit_b32 v47, v41, v41, 2
	v_alignbit_b32 v48, v41, v41, 13
	v_xor3_b32 v52, v59, v55, v60
	v_alignbit_b32 v49, v41, v41, 22
	v_add3_u32 v50, v17, v40, v58
	v_add3_u32 v40, v37, v16, v51
	v_alignbit_b32 v53, v36, v36, 7
	v_add3_u32 v37, v19, v18, v52
	v_lshrrev_b32_e32 v19, 3, v36
	v_alignbit_b32 v55, v43, v43, 6
	v_alignbit_b32 v56, v43, v43, 11
	;; [unrolled: 1-line block ×3, first 2 shown]
	v_xor3_b32 v47, v48, v47, v49
	v_alignbit_b32 v51, v40, v40, 17
	v_alignbit_b32 v52, v40, v40, 19
	;; [unrolled: 1-line block ×3, first 2 shown]
	v_xor3_b32 v49, v56, v55, v57
	v_alignbit_b32 v55, v34, v34, 18
	v_dual_lshrrev_b32 v56, 3, v34 :: v_dual_lshrrev_b32 v63, 10, v37
	v_alignbit_b32 v62, v37, v37, 19
	s_delay_alu instid0(VALU_DEP_4) | instskip(SKIP_1) | instid1(VALU_DEP_1)
	v_add3_u32 v49, v50, v49, 0x27b70a85
	v_xor_b32_e32 v54, v42, v41
	v_bfi_b32 v48, v54, v39, v41
	v_alignbit_b32 v54, v36, v36, 18
	s_delay_alu instid0(VALU_DEP_2) | instskip(NEXT) | instid1(VALU_DEP_2)
	v_add3_u32 v46, v47, v48, v46
	v_dual_add_nc_u32 v53, v49, v39 :: v_dual_bitop2_b32 v50, v54, v53 bitop3:0x14
	v_lshrrev_b32_e32 v39, 10, v40
	v_alignbit_b32 v54, v34, v34, 7
	s_delay_alu instid0(VALU_DEP_3) | instskip(NEXT) | instid1(VALU_DEP_4)
	v_xad_u32 v19, v50, v19, v33
	v_alignbit_b32 v57, v53, v53, 6
	v_alignbit_b32 v58, v53, v53, 11
	;; [unrolled: 1-line block ×3, first 2 shown]
	v_bitop3_b32 v60, v53, v44, v43 bitop3:0xac
	v_xor3_b32 v39, v52, v51, v39
	v_xor3_b32 v33, v62, v61, v63
	s_delay_alu instid0(VALU_DEP_4) | instskip(NEXT) | instid1(VALU_DEP_4)
	v_xor3_b32 v57, v58, v57, v59
	v_add3_u32 v45, v14, v45, v60
	s_delay_alu instid0(VALU_DEP_4) | instskip(SKIP_2) | instid1(VALU_DEP_4)
	v_add3_u32 v39, v19, v15, v39
	v_alignbit_b32 v19, v38, v38, 7
	v_xor_b32_e32 v54, v55, v54
	v_add3_u32 v45, v45, v57, 0x2e1b2138
	s_delay_alu instid0(VALU_DEP_4) | instskip(SKIP_2) | instid1(VALU_DEP_4)
	v_alignbit_b32 v48, v39, v39, 17
	v_alignbit_b32 v55, v39, v39, 19
	;; [unrolled: 1-line block ×3, first 2 shown]
	v_add_nc_u32_e32 v47, v45, v42
	s_delay_alu instid0(VALU_DEP_1) | instskip(SKIP_2) | instid1(VALU_DEP_1)
	v_alignbit_b32 v50, v47, v47, 6
	v_alignbit_b32 v51, v47, v47, 11
	;; [unrolled: 1-line block ×3, first 2 shown]
	v_xor3_b32 v50, v51, v50, v52
	v_lshrrev_b32_e32 v51, 10, v39
	v_xad_u32 v36, v54, v56, v36
	v_alignbit_b32 v56, v35, v35, 7
	v_lshrrev_b32_e32 v52, 3, v38
	s_delay_alu instid0(VALU_DEP_4) | instskip(NEXT) | instid1(VALU_DEP_4)
	v_xor3_b32 v48, v55, v48, v51
	v_add3_u32 v33, v36, v17, v33
	v_alignbit_b32 v36, v38, v38, 18
	v_alignbit_b32 v55, v32, v32, 7
	s_delay_alu instid0(VALU_DEP_2) | instskip(SKIP_3) | instid1(VALU_DEP_4)
	v_xor_b32_e32 v19, v36, v19
	v_bitop3_b32 v54, v47, v43, v53 bitop3:0xac
	v_dual_lshrrev_b32 v56, 10, v33 :: v_dual_bitop2_b32 v36, v57, v56 bitop3:0x14
	v_lshrrev_b32_e32 v57, 3, v35
	v_xad_u32 v19, v19, v52, v34
	s_delay_alu instid0(VALU_DEP_4) | instskip(SKIP_1) | instid1(VALU_DEP_4)
	v_add3_u32 v44, v13, v44, v54
	v_alignbit_b32 v54, v33, v33, 19
	v_xad_u32 v38, v36, v57, v38
	s_delay_alu instid0(VALU_DEP_4) | instskip(NEXT) | instid1(VALU_DEP_4)
	v_add3_u32 v36, v19, v14, v48
	v_add3_u32 v44, v44, v50, 0x4d2c6dfc
	v_alignbit_b32 v50, v33, v33, 17
	v_alignbit_b32 v48, v32, v32, 18
	s_delay_alu instid0(VALU_DEP_3) | instskip(NEXT) | instid1(VALU_DEP_3)
	v_add_nc_u32_e32 v58, v44, v41
	v_xor3_b32 v34, v54, v50, v56
	s_delay_alu instid0(VALU_DEP_2) | instskip(SKIP_2) | instid1(VALU_DEP_4)
	v_alignbit_b32 v50, v58, v58, 6
	v_alignbit_b32 v51, v58, v58, 11
	;; [unrolled: 1-line block ×3, first 2 shown]
	v_add3_u32 v19, v38, v13, v34
	v_alignbit_b32 v34, v36, v36, 17
	v_alignbit_b32 v38, v36, v36, 19
	s_delay_alu instid0(VALU_DEP_4) | instskip(SKIP_3) | instid1(VALU_DEP_3)
	v_xor3_b32 v50, v51, v50, v52
	v_lshrrev_b32_e32 v51, 10, v36
	v_bitop3_b32 v54, v58, v53, v47 bitop3:0xac
	v_alignbit_b32 v52, v46, v46, 13
	v_xor3_b32 v34, v38, v34, v51
	s_delay_alu instid0(VALU_DEP_3) | instskip(SKIP_1) | instid1(VALU_DEP_2)
	v_add3_u32 v43, v12, v43, v54
	v_alignbit_b32 v54, v46, v46, 22
	v_add3_u32 v43, v43, v50, 0x53380d13
	v_alignbit_b32 v50, v46, v46, 2
	s_delay_alu instid0(VALU_DEP_2) | instskip(NEXT) | instid1(VALU_DEP_2)
	v_dual_lshrrev_b32 v56, 3, v32 :: v_dual_add_nc_u32 v57, v43, v46
	v_xor3_b32 v38, v52, v50, v54
	v_xor_b32_e32 v50, v41, v46
	s_delay_alu instid0(VALU_DEP_3) | instskip(SKIP_1) | instid1(VALU_DEP_3)
	v_alignbit_b32 v51, v57, v57, 6
	v_alignbit_b32 v52, v57, v57, 11
	v_bfi_b32 v42, v50, v42, v46
	v_alignbit_b32 v54, v57, v57, 25
	s_delay_alu instid0(VALU_DEP_2) | instskip(SKIP_2) | instid1(VALU_DEP_4)
	v_add3_u32 v38, v38, v42, v49
	v_xor_b32_e32 v48, v48, v55
	v_bitop3_b32 v55, v57, v47, v58 bitop3:0xac
	v_xor3_b32 v50, v52, v51, v54
	v_alignbit_b32 v42, v31, v31, 18
	v_alignbit_b32 v54, v38, v38, 22
	v_xad_u32 v35, v48, v56, v35
	v_add3_u32 v51, v40, v53, v55
	v_alignbit_b32 v48, v31, v31, 7
	v_alignbit_b32 v53, v38, v38, 13
	v_lshrrev_b32_e32 v59, 3, v31
	v_add3_u32 v34, v35, v12, v34
	v_add3_u32 v50, v51, v50, 0x650a7354
	v_alignbit_b32 v51, v38, v38, 2
	v_xor_b32_e32 v42, v42, v48
	v_alignbit_b32 v49, v19, v19, 17
	v_alignbit_b32 v52, v19, v19, 19
	v_add_nc_u32_e32 v56, v50, v38
	v_xor3_b32 v48, v53, v51, v54
	v_xad_u32 v32, v42, v59, v32
	v_dual_lshrrev_b32 v55, 10, v19 :: v_dual_lshrrev_b32 v59, 10, v34
	s_delay_alu instid0(VALU_DEP_4)
	v_alignbit_b32 v53, v56, v56, 6
	v_alignbit_b32 v54, v56, v56, 11
	;; [unrolled: 1-line block ×3, first 2 shown]
	v_bitop3_b32 v61, v56, v58, v57 bitop3:0xac
	v_xor3_b32 v49, v52, v49, v55
	v_alignbit_b32 v52, v34, v34, 17
	s_delay_alu instid0(VALU_DEP_4) | instskip(NEXT) | instid1(VALU_DEP_4)
	v_xor3_b32 v42, v54, v53, v60
	v_add3_u32 v47, v37, v47, v61
	s_delay_alu instid0(VALU_DEP_4) | instskip(NEXT) | instid1(VALU_DEP_2)
	v_add3_u32 v32, v32, v40, v49
	v_add3_u32 v35, v47, v42, 0x766a0abb
	v_xor_b32_e32 v51, v46, v38
	s_delay_alu instid0(VALU_DEP_1) | instskip(SKIP_1) | instid1(VALU_DEP_2)
	v_bfi_b32 v41, v51, v41, v38
	v_alignbit_b32 v51, v16, v16, 18
	v_add3_u32 v41, v48, v41, v45
	v_alignbit_b32 v48, v16, v16, 7
	s_delay_alu instid0(VALU_DEP_2) | instskip(SKIP_3) | instid1(VALU_DEP_2)
	v_alignbit_b32 v42, v41, v41, 2
	v_alignbit_b32 v45, v41, v41, 13
	;; [unrolled: 1-line block ×3, first 2 shown]
	v_add_nc_u32_e32 v49, v35, v41
	v_xor3_b32 v42, v45, v42, v47
	v_xor_b32_e32 v45, v38, v41
	s_delay_alu instid0(VALU_DEP_3)
	v_alignbit_b32 v47, v49, v49, 6
	v_alignbit_b32 v53, v49, v49, 11
	;; [unrolled: 1-line block ×3, first 2 shown]
	v_bitop3_b32 v55, v49, v57, v56 bitop3:0xac
	v_bfi_b32 v45, v45, v46, v41
	v_alignbit_b32 v46, v34, v34, 19
	s_delay_alu instid0(VALU_DEP_4) | instskip(NEXT) | instid1(VALU_DEP_4)
	v_xor3_b32 v47, v53, v47, v54
	v_add3_u32 v53, v39, v58, v55
	s_delay_alu instid0(VALU_DEP_4)
	v_add3_u32 v42, v42, v45, v44
	v_xor_b32_e32 v45, v51, v48
	v_xor3_b32 v46, v46, v52, v59
	v_lshrrev_b32_e32 v44, 3, v16
	v_add3_u32 v47, v53, v47, 0x81c2c92e
	v_alignbit_b32 v48, v42, v42, 2
	v_alignbit_b32 v51, v42, v42, 13
	v_alignbit_b32 v52, v42, v42, 22
	v_alignbit_b32 v53, v18, v18, 18
	s_delay_alu instid0(VALU_DEP_2) | instskip(SKIP_1) | instid1(VALU_DEP_1)
	v_xor3_b32 v48, v51, v48, v52
	v_xor_b32_e32 v51, v41, v42
	v_bfi_b32 v38, v51, v38, v42
	v_lshrrev_b32_e32 v51, 3, v18
	v_xad_u32 v31, v45, v44, v31
	v_alignbit_b32 v45, v18, v18, 7
	v_add_nc_u32_e32 v44, v47, v42
	v_add3_u32 v38, v48, v38, v43
	v_alignbit_b32 v43, v32, v32, 17
	v_alignbit_b32 v48, v32, v32, 19
	v_xor_b32_e32 v45, v53, v45
	v_alignbit_b32 v52, v44, v44, 6
	v_alignbit_b32 v54, v44, v44, 11
	;; [unrolled: 1-line block ×3, first 2 shown]
	v_bitop3_b32 v58, v44, v56, v49 bitop3:0xac
	v_add3_u32 v31, v31, v37, v46
	v_xad_u32 v16, v45, v51, v16
	s_delay_alu instid0(VALU_DEP_4) | instskip(NEXT) | instid1(VALU_DEP_4)
	v_xor3_b32 v52, v54, v52, v55
	v_add3_u32 v53, v33, v57, v58
	v_alignbit_b32 v55, v38, v38, 13
	v_alignbit_b32 v57, v38, v38, 22
	s_delay_alu instid0(VALU_DEP_3) | instskip(SKIP_2) | instid1(VALU_DEP_3)
	v_add3_u32 v52, v53, v52, 0x92722c85
	v_lshrrev_b32_e32 v54, 10, v32
	v_alignbit_b32 v53, v38, v38, 2
	v_add_nc_u32_e32 v46, v52, v38
	s_delay_alu instid0(VALU_DEP_3) | instskip(NEXT) | instid1(VALU_DEP_3)
	v_xor3_b32 v43, v48, v43, v54
	v_xor3_b32 v45, v55, v53, v57
	v_xor_b32_e32 v48, v42, v38
	v_alignbit_b32 v57, v15, v15, 18
	v_alignbit_b32 v51, v46, v46, 6
	;; [unrolled: 1-line block ×4, first 2 shown]
	v_bitop3_b32 v55, v46, v49, v44 bitop3:0xac
	s_delay_alu instid0(VALU_DEP_2) | instskip(SKIP_2) | instid1(VALU_DEP_4)
	v_xor3_b32 v51, v53, v51, v54
	v_lshrrev_b32_e32 v54, 10, v31
	v_bfi_b32 v41, v48, v41, v38
	v_add3_u32 v53, v36, v56, v55
	v_alignbit_b32 v48, v15, v15, 7
	s_delay_alu instid0(VALU_DEP_3)
	v_add3_u32 v41, v45, v41, v50
	v_alignbit_b32 v45, v31, v31, 17
	v_alignbit_b32 v50, v31, v31, 19
	v_add3_u32 v51, v53, v51, 0xa2bfe8a1
	v_lshrrev_b32_e32 v58, 3, v15
	v_alignbit_b32 v53, v41, v41, 2
	v_alignbit_b32 v55, v41, v41, 13
	;; [unrolled: 1-line block ×3, first 2 shown]
	v_xor3_b32 v45, v50, v45, v54
	v_add_nc_u32_e32 v59, v51, v41
	s_delay_alu instid0(VALU_DEP_3) | instskip(SKIP_1) | instid1(VALU_DEP_3)
	v_xor3_b32 v50, v55, v53, v56
	v_xor_b32_e32 v53, v38, v41
	v_alignbit_b32 v54, v59, v59, 6
	v_alignbit_b32 v55, v59, v59, 11
	;; [unrolled: 1-line block ×3, first 2 shown]
	s_delay_alu instid0(VALU_DEP_4) | instskip(NEXT) | instid1(VALU_DEP_1)
	v_bfi_b32 v42, v53, v42, v41
	v_add3_u32 v35, v50, v42, v35
	v_xor_b32_e32 v48, v57, v48
	v_bitop3_b32 v57, v59, v44, v46 bitop3:0xac
	v_alignbit_b32 v42, v17, v17, 7
	s_delay_alu instid0(VALU_DEP_4) | instskip(NEXT) | instid1(VALU_DEP_4)
	v_alignbit_b32 v50, v35, v35, 22
	v_xad_u32 v48, v48, v58, v18
	v_add3_u32 v18, v16, v39, v43
	v_xor3_b32 v43, v55, v54, v56
	v_add3_u32 v49, v19, v49, v57
	s_delay_alu instid0(VALU_DEP_4) | instskip(SKIP_2) | instid1(VALU_DEP_4)
	v_add3_u32 v16, v48, v33, v45
	v_alignbit_b32 v48, v35, v35, 2
	v_alignbit_b32 v45, v17, v17, 18
	v_add3_u32 v43, v49, v43, 0xa81a664b
	v_alignbit_b32 v49, v35, v35, 13
	v_alignbit_b32 v53, v18, v18, 17
	;; [unrolled: 1-line block ×3, first 2 shown]
	v_dual_lshrrev_b32 v61, 10, v16 :: v_dual_bitop2_b32 v42, v45, v42 bitop3:0x14
	v_add_nc_u32_e32 v54, v43, v35
	v_xor3_b32 v48, v49, v48, v50
	v_lshrrev_b32_e32 v56, 10, v18
	s_delay_alu instid0(VALU_DEP_3) | instskip(SKIP_3) | instid1(VALU_DEP_2)
	v_alignbit_b32 v50, v54, v54, 6
	v_alignbit_b32 v57, v54, v54, 11
	;; [unrolled: 1-line block ×3, first 2 shown]
	v_bitop3_b32 v60, v54, v46, v59 bitop3:0xac
	v_xor3_b32 v45, v57, v50, v58
	s_delay_alu instid0(VALU_DEP_2) | instskip(SKIP_1) | instid1(VALU_DEP_2)
	v_add3_u32 v44, v34, v44, v60
	v_alignbit_b32 v50, v14, v14, 18
	v_add3_u32 v44, v44, v45, 0xc24b8b70
	v_xor_b32_e32 v49, v41, v35
	s_delay_alu instid0(VALU_DEP_1) | instskip(SKIP_1) | instid1(VALU_DEP_2)
	v_bfi_b32 v38, v49, v38, v35
	v_lshrrev_b32_e32 v49, 3, v17
	v_add3_u32 v38, v48, v38, v47
	v_xor3_b32 v47, v55, v53, v56
	v_lshrrev_b32_e32 v55, 3, v14
	s_delay_alu instid0(VALU_DEP_4)
	v_xad_u32 v15, v42, v49, v15
	v_alignbit_b32 v56, v16, v16, 17
	v_alignbit_b32 v45, v38, v38, 2
	v_alignbit_b32 v48, v38, v38, 13
	v_alignbit_b32 v49, v38, v38, 22
	v_add_nc_u32_e32 v53, v44, v38
	v_add3_u32 v15, v15, v36, v47
	v_alignbit_b32 v42, v14, v14, 7
	s_delay_alu instid0(VALU_DEP_4) | instskip(NEXT) | instid1(VALU_DEP_4)
	v_xor3_b32 v45, v48, v45, v49
	v_alignbit_b32 v49, v53, v53, 6
	v_alignbit_b32 v57, v53, v53, 11
	;; [unrolled: 1-line block ×3, first 2 shown]
	v_bitop3_b32 v60, v53, v59, v54 bitop3:0xac
	v_xor_b32_e32 v42, v50, v42
	v_alignbit_b32 v50, v13, v13, 7
	s_delay_alu instid0(VALU_DEP_4) | instskip(NEXT) | instid1(VALU_DEP_4)
	v_xor3_b32 v49, v57, v49, v58
	v_add3_u32 v46, v32, v46, v60
	v_alignbit_b32 v58, v15, v15, 19
	s_delay_alu instid0(VALU_DEP_2) | instskip(SKIP_1) | instid1(VALU_DEP_1)
	v_add3_u32 v46, v46, v49, 0xc76c51a3
	v_xor_b32_e32 v48, v35, v38
	v_bfi_b32 v41, v48, v41, v38
	v_alignbit_b32 v48, v16, v16, 19
	s_delay_alu instid0(VALU_DEP_2) | instskip(NEXT) | instid1(VALU_DEP_2)
	v_add3_u32 v41, v45, v41, v52
	v_xor3_b32 v45, v48, v56, v61
	v_alignbit_b32 v52, v13, v13, 18
	s_delay_alu instid0(VALU_DEP_3) | instskip(SKIP_2) | instid1(VALU_DEP_4)
	v_alignbit_b32 v47, v41, v41, 2
	v_alignbit_b32 v48, v41, v41, 13
	;; [unrolled: 1-line block ×3, first 2 shown]
	v_xor_b32_e32 v50, v52, v50
	s_delay_alu instid0(VALU_DEP_2) | instskip(SKIP_1) | instid1(VALU_DEP_1)
	v_xor3_b32 v47, v48, v47, v49
	v_xor_b32_e32 v48, v38, v41
	v_bfi_b32 v35, v48, v35, v41
	v_alignbit_b32 v48, v15, v15, 17
	s_delay_alu instid0(VALU_DEP_2)
	v_add3_u32 v35, v47, v35, v51
	v_lshrrev_b32_e32 v47, 10, v15
	v_xad_u32 v17, v42, v55, v17
	v_add_nc_u32_e32 v42, v46, v41
	v_lshrrev_b32_e32 v51, 3, v13
	v_alignbit_b32 v52, v35, v35, 2
	v_xor3_b32 v47, v58, v48, v47
	v_lshrrev_b32_e32 v58, 3, v12
	v_alignbit_b32 v49, v42, v42, 6
	v_alignbit_b32 v55, v42, v42, 11
	;; [unrolled: 1-line block ×3, first 2 shown]
	v_bitop3_b32 v57, v42, v54, v53 bitop3:0xac
	v_xad_u32 v50, v50, v51, v14
	v_add3_u32 v14, v17, v19, v45
	v_xor_b32_e32 v17, v41, v35
	v_xor3_b32 v49, v55, v49, v56
	v_add3_u32 v55, v31, v59, v57
	v_alignbit_b32 v56, v35, v35, 22
	s_delay_alu instid0(VALU_DEP_4) | instskip(SKIP_1) | instid1(VALU_DEP_4)
	v_bfi_b32 v38, v17, v38, v35
	v_add3_u32 v17, v50, v34, v47
	v_add3_u32 v49, v55, v49, 0xd192e819
	v_alignbit_b32 v55, v35, v35, 13
	v_alignbit_b32 v47, v12, v12, 7
	s_delay_alu instid0(VALU_DEP_2) | instskip(NEXT) | instid1(VALU_DEP_1)
	v_xor3_b32 v45, v55, v52, v56
	v_add3_u32 v38, v45, v38, v43
	v_add_nc_u32_e32 v48, v49, v35
	v_alignbit_b32 v43, v12, v12, 18
	v_alignbit_b32 v45, v14, v14, 17
	s_delay_alu instid0(VALU_DEP_3) | instskip(SKIP_4) | instid1(VALU_DEP_3)
	v_alignbit_b32 v51, v48, v48, 6
	v_alignbit_b32 v52, v48, v48, 11
	;; [unrolled: 1-line block ×3, first 2 shown]
	v_bitop3_b32 v56, v48, v53, v42 bitop3:0xac
	v_xor_b32_e32 v43, v43, v47
	v_xor3_b32 v50, v52, v51, v55
	s_delay_alu instid0(VALU_DEP_3)
	v_add3_u32 v51, v18, v54, v56
	v_alignbit_b32 v54, v38, v38, 13
	v_alignbit_b32 v55, v38, v38, 22
	;; [unrolled: 1-line block ×3, first 2 shown]
	v_lshrrev_b32_e32 v56, 10, v14
	v_add3_u32 v50, v51, v50, 0xd6990624
	v_alignbit_b32 v51, v38, v38, 2
	s_delay_alu instid0(VALU_DEP_3) | instskip(NEXT) | instid1(VALU_DEP_3)
	v_xor3_b32 v45, v52, v45, v56
	v_add_nc_u32_e32 v57, v50, v38
	s_delay_alu instid0(VALU_DEP_3) | instskip(SKIP_2) | instid1(VALU_DEP_4)
	v_xor3_b32 v47, v54, v51, v55
	v_dual_lshrrev_b32 v52, 3, v40 :: v_dual_bitop2_b32 v51, v35, v38 bitop3:0x14
	v_xad_u32 v13, v43, v58, v13
	v_alignbit_b32 v54, v57, v57, 6
	v_alignbit_b32 v55, v57, v57, 11
	;; [unrolled: 1-line block ×3, first 2 shown]
	v_bitop3_b32 v60, v57, v42, v48 bitop3:0xac
	v_bfi_b32 v41, v51, v41, v38
	v_add3_u32 v13, v13, v32, v45
	v_alignbit_b32 v56, v17, v17, 19
	v_xor3_b32 v43, v55, v54, v59
	v_add3_u32 v51, v16, v53, v60
	v_add3_u32 v41, v47, v41, v44
	v_alignbit_b32 v44, v40, v40, 7
	v_alignbit_b32 v47, v40, v40, 18
	v_alignbit_b32 v55, v17, v17, 17
	v_add3_u32 v43, v51, v43, 0xf40e3585
	v_alignbit_b32 v51, v41, v41, 2
	v_alignbit_b32 v53, v41, v41, 13
	;; [unrolled: 1-line block ×3, first 2 shown]
	s_delay_alu instid0(VALU_DEP_1) | instskip(SKIP_1) | instid1(VALU_DEP_1)
	v_xor3_b32 v51, v53, v51, v54
	v_xor_b32_e32 v53, v38, v41
	v_bfi_b32 v35, v53, v35, v41
	v_lshrrev_b32_e32 v53, 10, v17
	s_delay_alu instid0(VALU_DEP_2) | instskip(SKIP_2) | instid1(VALU_DEP_4)
	v_add3_u32 v46, v51, v35, v46
	v_xor_b32_e32 v44, v47, v44
	v_add_nc_u32_e32 v47, v43, v41
	v_xor3_b32 v35, v56, v55, v53
	v_alignbit_b32 v51, v37, v37, 7
	v_alignbit_b32 v55, v46, v46, 22
	;; [unrolled: 1-line block ×6, first 2 shown]
	v_bitop3_b32 v60, v47, v48, v57 bitop3:0xac
	v_xor_b32_e32 v51, v53, v51
	v_alignbit_b32 v56, v13, v13, 17
	s_delay_alu instid0(VALU_DEP_4) | instskip(NEXT) | instid1(VALU_DEP_4)
	v_xor3_b32 v45, v58, v54, v59
	v_add3_u32 v42, v15, v42, v60
	v_alignbit_b32 v54, v46, v46, 13
	v_lshrrev_b32_e32 v60, 10, v13
	v_alignbit_b32 v59, v13, v13, 19
	s_delay_alu instid0(VALU_DEP_4) | instskip(SKIP_1) | instid1(VALU_DEP_2)
	v_add3_u32 v42, v42, v45, 0x106aa070
	v_alignbit_b32 v45, v46, v46, 2
	v_add_nc_u32_e32 v58, v42, v46
	s_delay_alu instid0(VALU_DEP_2)
	v_xor3_b32 v45, v54, v45, v55
	v_xor_b32_e32 v54, v41, v46
	v_xad_u32 v12, v44, v52, v12
	v_xor3_b32 v44, v59, v56, v60
	v_alignbit_b32 v55, v58, v58, 6
	v_alignbit_b32 v61, v58, v58, 11
	v_alignbit_b32 v62, v58, v58, 25
	v_bitop3_b32 v63, v58, v57, v47 bitop3:0xac
	v_bfi_b32 v38, v54, v38, v46
	v_add3_u32 v35, v12, v31, v35
	v_alignbit_b32 v59, v33, v33, 18
	v_xor3_b32 v53, v61, v55, v62
	v_add3_u32 v48, v14, v48, v63
	v_add3_u32 v38, v45, v38, v49
	v_lshrrev_b32_e32 v54, 3, v37
	s_delay_alu instid0(VALU_DEP_3) | instskip(NEXT) | instid1(VALU_DEP_3)
	v_add3_u32 v45, v48, v53, 0x19a4c116
	v_alignbit_b32 v48, v38, v38, 2
	s_delay_alu instid0(VALU_DEP_3)
	v_xad_u32 v40, v51, v54, v40
	v_alignbit_b32 v49, v38, v38, 13
	v_alignbit_b32 v51, v38, v38, 22
	v_add_nc_u32_e32 v52, v45, v38
	v_alignbit_b32 v54, v39, v39, 18
	v_add3_u32 v12, v40, v18, v44
	v_xor_b32_e32 v44, v46, v38
	v_xor3_b32 v40, v49, v48, v51
	v_alignbit_b32 v48, v52, v52, 6
	v_alignbit_b32 v49, v52, v52, 11
	;; [unrolled: 1-line block ×3, first 2 shown]
	v_bitop3_b32 v53, v52, v47, v58 bitop3:0xac
	v_bfi_b32 v41, v44, v41, v38
	v_alignbit_b32 v44, v39, v39, 7
	v_lshrrev_b32_e32 v56, 3, v39
	v_xor3_b32 v48, v49, v48, v51
	v_add3_u32 v49, v17, v57, v53
	v_add3_u32 v40, v40, v41, v50
	v_alignbit_b32 v41, v35, v35, 17
	v_alignbit_b32 v50, v35, v35, 19
	v_xor_b32_e32 v44, v54, v44
	v_add3_u32 v48, v49, v48, 0x1e376c08
	v_lshrrev_b32_e32 v51, 10, v35
	v_alignbit_b32 v49, v40, v40, 2
	v_alignbit_b32 v53, v40, v40, 13
	;; [unrolled: 1-line block ×3, first 2 shown]
	v_add_nc_u32_e32 v57, v48, v40
	v_xor3_b32 v41, v50, v41, v51
	v_xor_b32_e32 v50, v38, v40
	v_xad_u32 v37, v44, v56, v37
	v_xor3_b32 v49, v53, v49, v55
	v_alignbit_b32 v51, v57, v57, 6
	v_alignbit_b32 v53, v57, v57, 11
	;; [unrolled: 1-line block ×3, first 2 shown]
	v_bitop3_b32 v55, v57, v58, v52 bitop3:0xac
	v_lshrrev_b32_e32 v44, 3, v33
	v_bfi_b32 v46, v50, v46, v40
	v_alignbit_b32 v50, v33, v33, 7
	v_xor3_b32 v51, v53, v51, v54
	v_add3_u32 v47, v13, v47, v55
	v_alignbit_b32 v53, v12, v12, 17
	v_add3_u32 v43, v49, v46, v43
	v_dual_lshrrev_b32 v56, 10, v12 :: v_dual_bitop2_b32 v46, v59, v50 bitop3:0x14
	s_delay_alu instid0(VALU_DEP_4) | instskip(SKIP_1) | instid1(VALU_DEP_4)
	v_add3_u32 v47, v47, v51, 0x2748774c
	v_alignbit_b32 v55, v12, v12, 19
	v_alignbit_b32 v49, v43, v43, 2
	;; [unrolled: 1-line block ×4, first 2 shown]
	v_add_nc_u32_e32 v54, v47, v43
	v_add3_u32 v37, v37, v16, v41
	v_xor3_b32 v41, v55, v53, v56
	s_delay_alu instid0(VALU_DEP_4)
	v_xor3_b32 v49, v50, v49, v51
	v_xor_b32_e32 v50, v40, v43
	v_alignbit_b32 v51, v54, v54, 6
	v_alignbit_b32 v59, v54, v54, 11
	v_alignbit_b32 v60, v54, v54, 25
	v_bitop3_b32 v61, v54, v52, v57 bitop3:0xac
	v_bfi_b32 v38, v50, v38, v43
	v_alignbit_b32 v53, v37, v37, 17
	v_alignbit_b32 v56, v37, v37, 19
	v_xor3_b32 v50, v59, v51, v60
	v_add3_u32 v51, v35, v58, v61
	v_add3_u32 v42, v49, v38, v42
	v_xad_u32 v38, v46, v44, v39
	v_alignbit_b32 v39, v36, v36, 7
	v_alignbit_b32 v44, v36, v36, 18
	v_add3_u32 v46, v51, v50, 0x34b0bcb5
	v_alignbit_b32 v49, v42, v42, 2
	v_alignbit_b32 v50, v42, v42, 13
	;; [unrolled: 1-line block ×3, first 2 shown]
	s_delay_alu instid0(VALU_DEP_4) | instskip(SKIP_2) | instid1(VALU_DEP_4)
	v_dual_lshrrev_b32 v58, 10, v37 :: v_dual_add_nc_u32 v55, v46, v42
	v_xor_b32_e32 v39, v44, v39
	v_add3_u32 v38, v38, v15, v41
	v_xor3_b32 v49, v50, v49, v51
	v_xor_b32_e32 v50, v43, v42
	v_alignbit_b32 v51, v55, v55, 6
	v_alignbit_b32 v59, v55, v55, 11
	;; [unrolled: 1-line block ×3, first 2 shown]
	v_bitop3_b32 v61, v55, v57, v54 bitop3:0xac
	v_bfi_b32 v40, v50, v40, v42
	v_lshrrev_b32_e32 v50, 3, v36
	s_delay_alu instid0(VALU_DEP_4) | instskip(NEXT) | instid1(VALU_DEP_4)
	v_xor3_b32 v44, v59, v51, v60
	v_add3_u32 v51, v12, v52, v61
	s_delay_alu instid0(VALU_DEP_4)
	v_add3_u32 v40, v49, v40, v45
	v_xor3_b32 v45, v56, v53, v58
	v_xad_u32 v33, v39, v50, v33
	v_alignbit_b32 v50, v19, v19, 7
	v_add3_u32 v39, v51, v44, 0x391c0cb3
	v_alignbit_b32 v41, v40, v40, 2
	v_alignbit_b32 v44, v40, v40, 13
	;; [unrolled: 1-line block ×3, first 2 shown]
	v_add3_u32 v33, v33, v14, v45
	v_add_nc_u32_e32 v45, v39, v40
	v_alignbit_b32 v51, v19, v19, 18
	v_alignbit_b32 v58, v38, v38, 19
	v_xor3_b32 v41, v44, v41, v49
	v_xor_b32_e32 v44, v42, v40
	v_alignbit_b32 v49, v45, v45, 6
	v_alignbit_b32 v52, v45, v45, 11
	v_alignbit_b32 v53, v45, v45, 25
	v_bitop3_b32 v56, v45, v54, v55 bitop3:0xac
	v_bfi_b32 v43, v44, v43, v40
	v_alignbit_b32 v44, v38, v38, 17
	v_xor_b32_e32 v50, v51, v50
	v_xor3_b32 v49, v52, v49, v53
	v_add3_u32 v52, v37, v57, v56
	v_add3_u32 v41, v41, v43, v48
	v_lshrrev_b32_e32 v48, 3, v19
	s_delay_alu instid0(VALU_DEP_3) | instskip(SKIP_1) | instid1(VALU_DEP_4)
	v_add3_u32 v49, v52, v49, 0x4ed8aa4a
	v_lshrrev_b32_e32 v43, 10, v38
	v_alignbit_b32 v51, v41, v41, 2
	v_alignbit_b32 v52, v41, v41, 13
	;; [unrolled: 1-line block ×3, first 2 shown]
	v_xad_u32 v36, v50, v48, v36
	v_xor3_b32 v43, v58, v44, v43
	v_dual_add_nc_u32 v44, v49, v41 :: v_dual_lshrrev_b32 v58, 3, v34
	s_delay_alu instid0(VALU_DEP_4) | instskip(SKIP_2) | instid1(VALU_DEP_4)
	v_xor3_b32 v50, v52, v51, v53
	v_xor_b32_e32 v51, v40, v41
	v_alignbit_b32 v48, v34, v34, 7
	v_alignbit_b32 v52, v44, v44, 6
	;; [unrolled: 1-line block ×4, first 2 shown]
	v_bitop3_b32 v57, v44, v55, v45 bitop3:0xac
	v_bfi_b32 v42, v51, v42, v41
	v_alignbit_b32 v51, v34, v34, 18
	v_add3_u32 v17, v36, v17, v43
	v_xor3_b32 v52, v53, v52, v56
	v_add3_u32 v53, v38, v54, v57
	v_add3_u32 v42, v50, v42, v47
	v_alignbit_b32 v47, v33, v33, 17
	v_alignbit_b32 v50, v33, v33, 19
	v_lshrrev_b32_e32 v54, 10, v33
	v_add3_u32 v52, v53, v52, 0x5b9cca4f
	v_alignbit_b32 v53, v42, v42, 2
	v_alignbit_b32 v56, v42, v42, 13
	;; [unrolled: 1-line block ×3, first 2 shown]
	s_delay_alu instid0(VALU_DEP_4) | instskip(SKIP_2) | instid1(VALU_DEP_4)
	v_dual_add_nc_u32 v51, v52, v42 :: v_dual_bitop2_b32 v48, v51, v48 bitop3:0x14
	v_xor3_b32 v36, v50, v47, v54
	v_xor_b32_e32 v47, v41, v42
	v_xor3_b32 v43, v56, v53, v57
	v_alignbit_b32 v57, v32, v32, 18
	v_alignbit_b32 v50, v51, v51, 6
	v_alignbit_b32 v53, v51, v51, 11
	v_alignbit_b32 v54, v51, v51, 25
	v_bitop3_b32 v56, v51, v45, v44 bitop3:0xac
	v_bfi_b32 v40, v47, v40, v42
	v_alignbit_b32 v47, v32, v32, 7
	v_xad_u32 v19, v48, v58, v19
	v_xor3_b32 v50, v53, v50, v54
	v_add3_u32 v53, v33, v55, v56
	v_add3_u32 v40, v43, v40, v46
	v_dual_lshrrev_b32 v43, 3, v32 :: v_dual_bitop2_b32 v46, v57, v47 bitop3:0x14
	v_alignbit_b32 v48, v17, v17, 17
	s_delay_alu instid0(VALU_DEP_4) | instskip(NEXT) | instid1(VALU_DEP_4)
	v_add3_u32 v47, v53, v50, 0x682e6ff3
	v_alignbit_b32 v50, v40, v40, 2
	v_alignbit_b32 v53, v40, v40, 13
	;; [unrolled: 1-line block ×3, first 2 shown]
	v_dual_lshrrev_b32 v58, 10, v17 :: v_dual_bitop2_b32 v56, v42, v40 bitop3:0x14
	v_add_nc_u32_e32 v55, v47, v40
	v_alignbit_b32 v57, v17, v17, 19
	s_delay_alu instid0(VALU_DEP_4) | instskip(NEXT) | instid1(VALU_DEP_4)
	v_xor3_b32 v50, v53, v50, v54
	v_bfi_b32 v41, v56, v41, v40
	v_xad_u32 v34, v46, v43, v34
	v_alignbit_b32 v53, v55, v55, 6
	v_alignbit_b32 v54, v55, v55, 11
	;; [unrolled: 1-line block ×3, first 2 shown]
	v_bitop3_b32 v60, v55, v44, v51 bitop3:0xac
	v_xor3_b32 v48, v57, v48, v58
	v_add3_u32 v39, v50, v41, v39
	v_add3_u32 v13, v19, v13, v36
	v_xor3_b32 v43, v54, v53, v59
	v_add3_u32 v45, v17, v45, v60
	v_add3_u32 v19, v34, v35, v48
	v_alignbit_b32 v35, v39, v39, 2
	v_alignbit_b32 v36, v39, v39, 13
	v_alignbit_b32 v41, v39, v39, 22
	v_add3_u32 v34, v45, v43, 0x748f82ee
	v_alignbit_b32 v43, v31, v31, 7
	v_alignbit_b32 v46, v31, v31, 18
	;; [unrolled: 1-line block ×3, first 2 shown]
	v_xor3_b32 v35, v36, v35, v41
	v_dual_add_nc_u32 v45, v34, v39 :: v_dual_bitop2_b32 v36, v40, v39 bitop3:0x14
	s_delay_alu instid0(VALU_DEP_4) | instskip(NEXT) | instid1(VALU_DEP_2)
	v_dual_lshrrev_b32 v56, 10, v13 :: v_dual_bitop2_b32 v43, v46, v43 bitop3:0x14
	v_alignbit_b32 v41, v45, v45, 6
	v_alignbit_b32 v50, v45, v45, 11
	;; [unrolled: 1-line block ×3, first 2 shown]
	v_bitop3_b32 v54, v45, v51, v55 bitop3:0xac
	v_bfi_b32 v36, v36, v42, v39
	v_alignbit_b32 v42, v13, v13, 19
	s_delay_alu instid0(VALU_DEP_4) | instskip(NEXT) | instid1(VALU_DEP_4)
	v_xor3_b32 v41, v50, v41, v53
	v_add3_u32 v13, v13, v44, v54
	s_delay_alu instid0(VALU_DEP_4)
	v_add3_u32 v35, v35, v36, v49
	v_lshrrev_b32_e32 v36, 3, v31
	v_xor3_b32 v42, v42, v48, v56
	v_alignbit_b32 v48, v18, v18, 18
	v_add3_u32 v13, v13, v41, 0x78a5636f
	v_alignbit_b32 v41, v35, v35, 2
	v_alignbit_b32 v44, v35, v35, 13
	;; [unrolled: 1-line block ×3, first 2 shown]
	s_delay_alu instid0(VALU_DEP_1) | instskip(SKIP_1) | instid1(VALU_DEP_1)
	v_xor3_b32 v41, v44, v41, v46
	v_xor_b32_e32 v44, v39, v35
	v_bfi_b32 v40, v44, v40, v35
	v_lshrrev_b32_e32 v44, 3, v18
	v_xad_u32 v32, v43, v36, v32
	v_alignbit_b32 v43, v18, v18, 7
	s_delay_alu instid0(VALU_DEP_4) | instskip(SKIP_1) | instid1(VALU_DEP_4)
	v_add3_u32 v40, v41, v40, v52
	v_add_nc_u32_e32 v36, v13, v35
	v_add3_u32 v12, v32, v12, v42
	s_delay_alu instid0(VALU_DEP_4)
	v_xor_b32_e32 v43, v48, v43
	v_alignbit_b32 v41, v19, v19, 17
	v_xor_b32_e32 v42, v35, v40
	v_alignbit_b32 v46, v36, v36, 6
	v_alignbit_b32 v49, v36, v36, 11
	;; [unrolled: 1-line block ×3, first 2 shown]
	v_bitop3_b32 v53, v36, v55, v45 bitop3:0xac
	v_xad_u32 v31, v43, v44, v31
	v_bfi_b32 v39, v42, v39, v40
	v_alignbit_b32 v42, v16, v16, 7
	v_xor3_b32 v46, v49, v46, v50
	v_add3_u32 v48, v19, v51, v53
	v_alignbit_b32 v49, v19, v19, 19
	v_lshrrev_b32_e32 v19, 10, v19
	v_alignbit_b32 v50, v40, v40, 13
	v_alignbit_b32 v51, v40, v40, 22
	v_add3_u32 v46, v48, v46, 0x84c87814
	v_alignbit_b32 v48, v40, v40, 2
	v_xor3_b32 v19, v49, v41, v19
	s_delay_alu instid0(VALU_DEP_3) | instskip(NEXT) | instid1(VALU_DEP_3)
	v_add_nc_u32_e32 v32, v46, v40
	v_xor3_b32 v41, v50, v48, v51
	v_alignbit_b32 v50, v16, v16, 18
	s_delay_alu instid0(VALU_DEP_4)
	v_add3_u32 v19, v31, v37, v19
	v_lshrrev_b32_e32 v31, 3, v16
	v_alignbit_b32 v43, v32, v32, 6
	v_alignbit_b32 v44, v32, v32, 11
	v_alignbit_b32 v48, v32, v32, 25
	v_bitop3_b32 v49, v32, v45, v36 bitop3:0xac
	v_add3_u32 v39, v41, v39, v47
	v_alignbit_b32 v47, v12, v12, 17
	s_delay_alu instid0(VALU_DEP_4) | instskip(NEXT) | instid1(VALU_DEP_4)
	v_xor3_b32 v43, v44, v43, v48
	v_add3_u32 v44, v12, v55, v49
	v_alignbit_b32 v49, v12, v12, 19
	v_lshrrev_b32_e32 v12, 10, v12
	s_delay_alu instid0(VALU_DEP_3)
	v_add3_u32 v41, v44, v43, 0x8cc70208
	v_xor_b32_e32 v37, v50, v42
	v_alignbit_b32 v42, v39, v39, 2
	v_alignbit_b32 v43, v39, v39, 13
	;; [unrolled: 1-line block ×3, first 2 shown]
	v_add_nc_u32_e32 v48, v41, v39
	v_xor3_b32 v12, v49, v47, v12
	v_xad_u32 v18, v37, v31, v18
	v_lshrrev_b32_e32 v47, 3, v15
	v_xor3_b32 v42, v43, v42, v44
	v_alignbit_b32 v44, v48, v48, 6
	v_alignbit_b32 v50, v48, v48, 11
	;; [unrolled: 1-line block ×3, first 2 shown]
	v_bitop3_b32 v52, v48, v36, v32 bitop3:0xac
	v_add3_u32 v12, v18, v38, v12
	s_delay_alu instid0(VALU_DEP_3) | instskip(NEXT) | instid1(VALU_DEP_3)
	v_xor3_b32 v31, v50, v44, v51
	v_add3_u32 v37, v19, v45, v52
	v_alignbit_b32 v44, v15, v15, 18
	s_delay_alu instid0(VALU_DEP_2) | instskip(SKIP_1) | instid1(VALU_DEP_1)
	v_add3_u32 v18, v37, v31, 0x90befffa
	v_xor_b32_e32 v43, v40, v39
	v_bfi_b32 v35, v43, v35, v39
	v_alignbit_b32 v43, v15, v15, 7
	s_delay_alu instid0(VALU_DEP_2) | instskip(NEXT) | instid1(VALU_DEP_1)
	v_add3_u32 v34, v42, v35, v34
	v_alignbit_b32 v31, v34, v34, 2
	v_alignbit_b32 v35, v34, v34, 13
	;; [unrolled: 1-line block ×3, first 2 shown]
	v_dual_add_nc_u32 v42, v18, v34 :: v_dual_bitop2_b32 v38, v39, v34 bitop3:0x14
	s_delay_alu instid0(VALU_DEP_2) | instskip(NEXT) | instid1(VALU_DEP_2)
	v_xor3_b32 v31, v35, v31, v37
	v_bfi_b32 v35, v38, v40, v34
	s_delay_alu instid0(VALU_DEP_3) | instskip(SKIP_4) | instid1(VALU_DEP_3)
	v_alignbit_b32 v37, v42, v42, 6
	v_alignbit_b32 v38, v42, v42, 11
	;; [unrolled: 1-line block ×3, first 2 shown]
	v_bitop3_b32 v45, v42, v32, v48 bitop3:0xac
	v_add3_u32 v13, v31, v35, v13
	v_xor3_b32 v31, v38, v37, v40
	s_delay_alu instid0(VALU_DEP_3)
	v_add3_u32 v35, v12, v36, v45
	v_alignbit_b32 v36, v19, v19, 17
	v_alignbit_b32 v37, v19, v19, 19
	v_lshrrev_b32_e32 v19, 10, v19
	v_alignbit_b32 v38, v13, v13, 2
	v_add3_u32 v31, v35, v31, 0xa4506ceb
	v_xor_b32_e32 v43, v44, v43
	v_alignbit_b32 v35, v13, v13, 13
	v_alignbit_b32 v40, v13, v13, 22
	v_xor_b32_e32 v44, v34, v13
	v_xor3_b32 v19, v37, v36, v19
	v_add_nc_u32_e32 v36, v31, v13
	v_xad_u32 v16, v43, v47, v16
	v_xor3_b32 v35, v35, v38, v40
	v_bfi_b32 v38, v44, v39, v13
	v_alignbit_b32 v37, v14, v14, 7
	v_alignbit_b32 v39, v36, v36, 6
	;; [unrolled: 1-line block ×4, first 2 shown]
	v_bitop3_b32 v44, v36, v48, v42 bitop3:0xac
	v_add3_u32 v16, v16, v33, v19
	v_alignbit_b32 v19, v14, v14, 18
	v_add3_u32 v33, v35, v38, v46
	v_xor3_b32 v35, v40, v39, v43
	v_lshrrev_b32_e32 v14, 3, v14
	v_add3_u32 v16, v16, v32, v44
	v_alignbit_b32 v32, v12, v12, 17
	v_alignbit_b32 v38, v12, v12, 19
	v_dual_lshrrev_b32 v12, 10, v12 :: v_dual_bitop2_b32 v19, v19, v37 bitop3:0x14
	s_delay_alu instid0(VALU_DEP_4) | instskip(SKIP_3) | instid1(VALU_DEP_4)
	v_add3_u32 v35, v16, v35, 0xbef9a3f7
	v_alignbit_b32 v39, v33, v33, 2
	v_alignbit_b32 v16, v33, v33, 13
	;; [unrolled: 1-line block ×3, first 2 shown]
	v_dual_add_nc_u32 v37, v35, v33 :: v_dual_bitop2_b32 v43, v13, v33 bitop3:0x14
	v_xor3_b32 v12, v38, v32, v12
	v_xad_u32 v14, v19, v14, v15
	s_delay_alu instid0(VALU_DEP_4) | instskip(NEXT) | instid1(VALU_DEP_4)
	v_xor3_b32 v16, v16, v39, v40
	v_bfi_b32 v32, v43, v34, v33
	v_alignbit_b32 v15, v37, v37, 6
	v_alignbit_b32 v19, v37, v37, 11
	;; [unrolled: 1-line block ×3, first 2 shown]
	v_bitop3_b32 v38, v37, v42, v36 bitop3:0xac
	v_add3_u32 v12, v14, v17, v12
	v_add3_u32 v32, v16, v32, v41
	s_delay_alu instid0(VALU_DEP_4) | instskip(NEXT) | instid1(VALU_DEP_3)
	v_xor3_b32 v14, v19, v15, v34
	v_add3_u32 v12, v12, v48, v38
	s_delay_alu instid0(VALU_DEP_3) | instskip(NEXT) | instid1(VALU_DEP_2)
	v_alignbit_b32 v16, v32, v32, 2
	v_add3_u32 v19, v12, v14, 0xc67178f2
	v_alignbit_b32 v12, v32, v32, 13
	v_alignbit_b32 v14, v32, v32, 22
	s_delay_alu instid0(VALU_DEP_3) | instskip(NEXT) | instid1(VALU_DEP_2)
	v_add3_u32 v15, v32, v19, 0x510e527f
	v_xor3_b32 v16, v12, v16, v14
	v_add_nc_u32_e32 v14, 0x1f83d9ab, v36
	v_xor_b32_e32 v17, v33, v32
	s_delay_alu instid0(VALU_DEP_4) | instskip(SKIP_2) | instid1(VALU_DEP_4)
	v_alignbit_b32 v34, v15, v15, 6
	v_alignbit_b32 v38, v15, v15, 25
	v_add_nc_u32_e32 v12, 0x5be0cd19, v42
	v_bfi_b32 v17, v17, v13, v32
	v_add_nc_u32_e32 v13, 0x9b05688c, v37
	v_alignbit_b32 v37, v15, v15, 11
	s_delay_alu instid0(VALU_DEP_4) | instskip(NEXT) | instid1(VALU_DEP_4)
	v_add_nc_u32_e32 v36, s40, v12
	v_add3_u32 v18, v16, v17, v18
	s_delay_alu instid0(VALU_DEP_3) | instskip(SKIP_1) | instid1(VALU_DEP_3)
	v_xor3_b32 v17, v37, v34, v38
	v_bitop3_b32 v34, v15, v14, v13 bitop3:0xac
	v_add_nc_u32_e32 v16, 0xa54ff53a, v18
	v_alignbit_b32 v37, v18, v18, 22
	s_delay_alu instid0(VALU_DEP_3) | instskip(SKIP_2) | instid1(VALU_DEP_3)
	v_add3_u32 v34, v36, v34, v17
	v_alignbit_b32 v17, v18, v18, 2
	v_alignbit_b32 v36, v18, v18, 13
	v_dual_add_nc_u32 v39, v34, v16 :: v_dual_bitop2_b32 v38, v32, v18 bitop3:0x14
	s_delay_alu instid0(VALU_DEP_2) | instskip(NEXT) | instid1(VALU_DEP_2)
	v_xor3_b32 v17, v36, v17, v37
	v_bfi_b32 v33, v38, v33, v18
	s_delay_alu instid0(VALU_DEP_3) | instskip(SKIP_2) | instid1(VALU_DEP_4)
	v_alignbit_b32 v36, v39, v39, 6
	v_alignbit_b32 v37, v39, v39, 11
	;; [unrolled: 1-line block ×3, first 2 shown]
	v_add3_u32 v33, v17, v33, v31
	s_delay_alu instid0(VALU_DEP_2) | instskip(SKIP_2) | instid1(VALU_DEP_4)
	v_xor3_b32 v31, v37, v36, v38
	v_bitop3_b32 v36, v39, v13, v15 bitop3:0xac
	v_add_nc_u32_e32 v37, s41, v14
	v_alignbit_b32 v38, v33, v33, 22
	v_xor_b32_e32 v40, v18, v33
	v_add_nc_u32_e32 v17, 0x3c6ef372, v33
	s_delay_alu instid0(VALU_DEP_4) | instskip(SKIP_3) | instid1(VALU_DEP_2)
	v_add3_u32 v36, v37, v36, v31
	v_alignbit_b32 v31, v33, v33, 2
	v_alignbit_b32 v37, v33, v33, 13
	v_bfi_b32 v32, v40, v32, v33
	v_xor3_b32 v31, v37, v31, v38
	s_delay_alu instid0(VALU_DEP_1) | instskip(NEXT) | instid1(VALU_DEP_1)
	v_add3_u32 v32, v31, v32, v35
	v_dual_add_nc_u32 v41, v36, v17 :: v_dual_bitop2_b32 v33, v33, v32 bitop3:0x14
	s_delay_alu instid0(VALU_DEP_1)
	v_alignbit_b32 v37, v41, v41, 6
	v_alignbit_b32 v38, v41, v41, 11
	;; [unrolled: 1-line block ×3, first 2 shown]
	v_add_nc_u32_e32 v31, 0xbb67ae85, v32
	v_alignbit_b32 v42, v32, v32, 22
	v_bfi_b32 v18, v33, v18, v32
	s_delay_alu instid0(VALU_DEP_4) | instskip(SKIP_2) | instid1(VALU_DEP_1)
	v_xor3_b32 v35, v38, v37, v40
	v_bitop3_b32 v37, v41, v15, v39 bitop3:0xac
	v_add_nc_u32_e32 v38, s42, v13
	v_add3_u32 v35, v38, v37, v35
	v_alignbit_b32 v37, v32, v32, 2
	v_alignbit_b32 v38, v32, v32, 13
	s_delay_alu instid0(VALU_DEP_1) | instskip(NEXT) | instid1(VALU_DEP_1)
	v_dual_add_nc_u32 v40, v35, v31 :: v_dual_bitop2_b32 v37, v38, v37 bitop3:0x14
	v_alignbit_b32 v32, v40, v40, 6
	v_alignbit_b32 v33, v40, v40, 11
	;; [unrolled: 1-line block ×3, first 2 shown]
	s_delay_alu instid0(VALU_DEP_4) | instskip(SKIP_1) | instid1(VALU_DEP_3)
	v_xad_u32 v18, v37, v42, v18
	v_add_nc_u32_e32 v37, s43, v15
	v_xor3_b32 v32, v33, v32, v38
	v_bitop3_b32 v33, v40, v39, v41 bitop3:0xac
	s_delay_alu instid0(VALU_DEP_4) | instskip(NEXT) | instid1(VALU_DEP_2)
	v_add3_u32 v19, v18, v19, 0x6a09e667
	v_add3_u32 v18, v37, v33, v32
	s_delay_alu instid0(VALU_DEP_2) | instskip(SKIP_4) | instid1(VALU_DEP_1)
	v_xor_b32_e32 v45, v31, v19
	v_alignbit_b32 v42, v19, v19, 2
	v_alignbit_b32 v43, v19, v19, 13
	;; [unrolled: 1-line block ×3, first 2 shown]
	v_add_nc_u32_e32 v32, v18, v19
	v_alignbit_b32 v33, v32, v32, 6
	v_alignbit_b32 v37, v32, v32, 11
	;; [unrolled: 1-line block ×3, first 2 shown]
	s_delay_alu instid0(VALU_DEP_1) | instskip(SKIP_3) | instid1(VALU_DEP_3)
	v_xor3_b32 v33, v37, v33, v38
	v_bitop3_b32 v37, v32, v41, v40 bitop3:0xac
	v_xor3_b32 v38, v43, v42, v44
	v_bfi_b32 v42, v45, v17, v19
	v_add3_u32 v33, v39, v37, v33
	s_delay_alu instid0(VALU_DEP_2) | instskip(SKIP_1) | instid1(VALU_DEP_2)
	v_add3_u32 v34, v38, v42, v34
	s_wait_kmcnt 0x0
	v_add3_u32 v33, v33, s4, 0x3956c25b
	s_delay_alu instid0(VALU_DEP_2) | instskip(SKIP_2) | instid1(VALU_DEP_4)
	v_alignbit_b32 v38, v34, v34, 2
	v_alignbit_b32 v39, v34, v34, 13
	;; [unrolled: 1-line block ×3, first 2 shown]
	v_dual_add_nc_u32 v37, v33, v34 :: v_dual_bitop2_b32 v43, v19, v34 bitop3:0x14
	s_delay_alu instid0(VALU_DEP_2) | instskip(NEXT) | instid1(VALU_DEP_2)
	v_xor3_b32 v38, v39, v38, v42
	v_alignbit_b32 v44, v37, v37, 6
	v_alignbit_b32 v45, v37, v37, 11
	;; [unrolled: 1-line block ×3, first 2 shown]
	v_bitop3_b32 v47, v37, v40, v32 bitop3:0xac
	v_bfi_b32 v39, v43, v31, v34
	s_delay_alu instid0(VALU_DEP_3) | instskip(NEXT) | instid1(VALU_DEP_3)
	v_xor3_b32 v42, v45, v44, v46
	v_add3_u32 v41, v41, s5, v47
	s_delay_alu instid0(VALU_DEP_3) | instskip(NEXT) | instid1(VALU_DEP_2)
	v_add3_u32 v36, v38, v39, v36
	v_add3_u32 v38, v41, v42, 0x59f111f1
	s_delay_alu instid0(VALU_DEP_2) | instskip(SKIP_2) | instid1(VALU_DEP_4)
	v_alignbit_b32 v41, v36, v36, 2
	v_alignbit_b32 v42, v36, v36, 13
	v_alignbit_b32 v43, v36, v36, 22
	v_add_nc_u32_e32 v39, v38, v36
	s_delay_alu instid0(VALU_DEP_2) | instskip(NEXT) | instid1(VALU_DEP_2)
	v_xor3_b32 v41, v42, v41, v43
	v_alignbit_b32 v45, v39, v39, 6
	v_alignbit_b32 v46, v39, v39, 11
	;; [unrolled: 1-line block ×3, first 2 shown]
	v_bitop3_b32 v48, v39, v32, v37 bitop3:0xac
	s_delay_alu instid0(VALU_DEP_2) | instskip(NEXT) | instid1(VALU_DEP_2)
	v_xor3_b32 v43, v46, v45, v47
	v_add3_u32 v40, v40, s6, v48
	s_delay_alu instid0(VALU_DEP_1) | instskip(SKIP_1) | instid1(VALU_DEP_1)
	v_add3_u32 v40, v40, v43, 0x923f82a4
	v_xor_b32_e32 v44, v34, v36
	v_bfi_b32 v42, v44, v19, v36
	s_delay_alu instid0(VALU_DEP_1) | instskip(NEXT) | instid1(VALU_DEP_1)
	v_add3_u32 v35, v41, v42, v35
	v_add_nc_u32_e32 v41, v40, v35
	v_alignbit_b32 v42, v35, v35, 2
	v_alignbit_b32 v43, v35, v35, 13
	;; [unrolled: 1-line block ×3, first 2 shown]
	v_xor_b32_e32 v45, v36, v35
	v_alignbit_b32 v46, v41, v41, 6
	v_alignbit_b32 v47, v41, v41, 11
	;; [unrolled: 1-line block ×3, first 2 shown]
	v_bitop3_b32 v49, v41, v37, v39 bitop3:0xac
	v_xor3_b32 v42, v43, v42, v44
	v_bfi_b32 v34, v45, v34, v35
	s_delay_alu instid0(VALU_DEP_4) | instskip(NEXT) | instid1(VALU_DEP_4)
	v_xor3_b32 v43, v47, v46, v48
	v_add3_u32 v32, v32, s7, v49
	s_delay_alu instid0(VALU_DEP_3) | instskip(NEXT) | instid1(VALU_DEP_2)
	v_add3_u32 v18, v42, v34, v18
	v_add3_u32 v32, v32, v43, 0xab1c5ed5
	s_delay_alu instid0(VALU_DEP_2) | instskip(SKIP_2) | instid1(VALU_DEP_4)
	v_alignbit_b32 v42, v18, v18, 2
	v_alignbit_b32 v43, v18, v18, 13
	;; [unrolled: 1-line block ×3, first 2 shown]
	v_dual_add_nc_u32 v34, v32, v18 :: v_dual_bitop2_b32 v45, v35, v18 bitop3:0x14
	s_delay_alu instid0(VALU_DEP_2) | instskip(NEXT) | instid1(VALU_DEP_2)
	v_xor3_b32 v42, v43, v42, v44
	v_alignbit_b32 v46, v34, v34, 6
	v_alignbit_b32 v47, v34, v34, 11
	;; [unrolled: 1-line block ×3, first 2 shown]
	v_bitop3_b32 v49, v34, v39, v41 bitop3:0xac
	v_bfi_b32 v36, v45, v36, v18
	v_add3_u32 v39, 0x12835b01, s9, v39
	s_delay_alu instid0(VALU_DEP_4) | instskip(NEXT) | instid1(VALU_DEP_4)
	v_xor3_b32 v43, v47, v46, v48
	v_add3_u32 v37, v37, s8, v49
	s_delay_alu instid0(VALU_DEP_4) | instskip(NEXT) | instid1(VALU_DEP_2)
	v_add3_u32 v33, v42, v36, v33
	v_add3_u32 v36, v37, v43, 0xd807aa98
	s_delay_alu instid0(VALU_DEP_2) | instskip(SKIP_2) | instid1(VALU_DEP_4)
	v_alignbit_b32 v42, v33, v33, 2
	v_alignbit_b32 v43, v33, v33, 13
	;; [unrolled: 1-line block ×3, first 2 shown]
	v_dual_add_nc_u32 v37, v36, v33 :: v_dual_bitop2_b32 v45, v18, v33 bitop3:0x14
	s_delay_alu instid0(VALU_DEP_2) | instskip(NEXT) | instid1(VALU_DEP_2)
	v_xor3_b32 v42, v43, v42, v44
	v_bfi_b32 v35, v45, v35, v33
	s_delay_alu instid0(VALU_DEP_3)
	v_alignbit_b32 v46, v37, v37, 6
	v_alignbit_b32 v47, v37, v37, 11
	;; [unrolled: 1-line block ×3, first 2 shown]
	v_bitop3_b32 v44, v37, v41, v34 bitop3:0xac
	v_add3_u32 v35, v42, v35, v38
	v_add3_u32 v41, 0x243185be, s10, v41
	s_delay_alu instid0(VALU_DEP_4) | instskip(NEXT) | instid1(VALU_DEP_3)
	v_xor3_b32 v43, v47, v46, v48
	v_alignbit_b32 v42, v35, v35, 13
	s_delay_alu instid0(VALU_DEP_2) | instskip(SKIP_2) | instid1(VALU_DEP_3)
	v_add3_u32 v38, v39, v44, v43
	v_alignbit_b32 v39, v35, v35, 2
	v_alignbit_b32 v43, v35, v35, 22
	v_dual_add_nc_u32 v45, v38, v35 :: v_dual_bitop2_b32 v44, v33, v35 bitop3:0x14
	s_delay_alu instid0(VALU_DEP_2) | instskip(NEXT) | instid1(VALU_DEP_2)
	v_xor3_b32 v39, v42, v39, v43
	v_bfi_b32 v18, v44, v18, v35
	s_delay_alu instid0(VALU_DEP_3) | instskip(SKIP_2) | instid1(VALU_DEP_4)
	v_alignbit_b32 v42, v45, v45, 6
	v_alignbit_b32 v43, v45, v45, 11
	;; [unrolled: 1-line block ×3, first 2 shown]
	v_add3_u32 v18, v39, v18, v40
	v_bitop3_b32 v40, v45, v34, v37 bitop3:0xac
	v_add3_u32 v34, 0x550c7dc3, s11, v34
	s_delay_alu instid0(VALU_DEP_4) | instskip(NEXT) | instid1(VALU_DEP_4)
	v_xor3_b32 v39, v43, v42, v44
	v_alignbit_b32 v42, v18, v18, 2
	v_alignbit_b32 v43, v18, v18, 13
	;; [unrolled: 1-line block ×3, first 2 shown]
	v_xor_b32_e32 v46, v35, v18
	v_add3_u32 v39, v41, v40, v39
	s_delay_alu instid0(VALU_DEP_3) | instskip(NEXT) | instid1(VALU_DEP_3)
	v_xor3_b32 v40, v43, v42, v44
	v_bfi_b32 v33, v46, v33, v18
	s_delay_alu instid0(VALU_DEP_3) | instskip(NEXT) | instid1(VALU_DEP_2)
	v_add_nc_u32_e32 v41, v39, v18
	v_add3_u32 v32, v40, v33, v32
	s_delay_alu instid0(VALU_DEP_2) | instskip(SKIP_2) | instid1(VALU_DEP_4)
	v_alignbit_b32 v33, v41, v41, 6
	v_alignbit_b32 v40, v41, v41, 11
	;; [unrolled: 1-line block ×5, first 2 shown]
	v_xor_b32_e32 v46, v18, v32
	s_delay_alu instid0(VALU_DEP_4) | instskip(SKIP_4) | instid1(VALU_DEP_4)
	v_xor3_b32 v33, v40, v33, v42
	v_bitop3_b32 v40, v41, v37, v45 bitop3:0xac
	v_alignbit_b32 v42, v32, v32, 13
	v_add3_u32 v37, 0x72be5d74, s12, v37
	v_bfi_b32 v35, v46, v35, v32
	v_add3_u32 v33, v34, v40, v33
	s_delay_alu instid0(VALU_DEP_4) | instskip(NEXT) | instid1(VALU_DEP_2)
	v_xor3_b32 v34, v42, v43, v44
	v_add_nc_u32_e32 v40, v33, v32
	s_delay_alu instid0(VALU_DEP_2) | instskip(NEXT) | instid1(VALU_DEP_2)
	v_add3_u32 v34, v34, v35, v36
	v_alignbit_b32 v35, v40, v40, 6
	v_alignbit_b32 v36, v40, v40, 11
	;; [unrolled: 1-line block ×3, first 2 shown]
	s_delay_alu instid0(VALU_DEP_4)
	v_alignbit_b32 v43, v34, v34, 2
	v_alignbit_b32 v44, v34, v34, 13
	;; [unrolled: 1-line block ×3, first 2 shown]
	v_xor_b32_e32 v47, v32, v34
	v_xor3_b32 v35, v36, v35, v42
	v_bitop3_b32 v36, v40, v45, v41 bitop3:0xac
	s_delay_alu instid0(VALU_DEP_4) | instskip(NEXT) | instid1(VALU_DEP_4)
	v_xor3_b32 v42, v44, v43, v46
	v_bfi_b32 v18, v47, v18, v34
	s_delay_alu instid0(VALU_DEP_3) | instskip(NEXT) | instid1(VALU_DEP_2)
	v_add3_u32 v35, v37, v36, v35
	v_add3_u32 v18, v42, v18, v38
	s_delay_alu instid0(VALU_DEP_2) | instskip(NEXT) | instid1(VALU_DEP_2)
	v_add_nc_u32_e32 v36, v35, v34
	v_alignbit_b32 v37, v18, v18, 2
	v_alignbit_b32 v38, v18, v18, 13
	;; [unrolled: 1-line block ×3, first 2 shown]
	v_xor_b32_e32 v47, v34, v18
	v_alignbit_b32 v43, v36, v36, 6
	v_alignbit_b32 v44, v36, v36, 11
	;; [unrolled: 1-line block ×3, first 2 shown]
	v_xor3_b32 v37, v38, v37, v42
	v_bfi_b32 v32, v47, v32, v18
	v_bitop3_b32 v42, v36, v41, v40 bitop3:0xac
	v_add3_u32 v41, 0x9bdc06a7, s14, v41
	v_xor3_b32 v38, v44, v43, v46
	v_add3_u32 v43, 0x80deb1fe, s13, v45
	v_add3_u32 v32, v37, v32, v39
	s_delay_alu instid0(VALU_DEP_2) | instskip(NEXT) | instid1(VALU_DEP_2)
	v_add3_u32 v38, v43, v42, v38
	v_alignbit_b32 v39, v32, v32, 2
	v_alignbit_b32 v42, v32, v32, 13
	v_alignbit_b32 v43, v32, v32, 22
	v_xor_b32_e32 v44, v18, v32
	s_delay_alu instid0(VALU_DEP_2) | instskip(NEXT) | instid1(VALU_DEP_2)
	v_xor3_b32 v39, v42, v39, v43
	v_bfi_b32 v34, v44, v34, v32
	s_delay_alu instid0(VALU_DEP_1) | instskip(SKIP_1) | instid1(VALU_DEP_2)
	v_add3_u32 v33, v39, v34, v33
	v_add_nc_u32_e32 v37, v38, v18
	v_alignbit_b32 v39, v33, v33, 2
	s_delay_alu instid0(VALU_DEP_2) | instskip(SKIP_4) | instid1(VALU_DEP_3)
	v_alignbit_b32 v45, v37, v37, 6
	v_alignbit_b32 v46, v37, v37, 11
	;; [unrolled: 1-line block ×3, first 2 shown]
	v_bitop3_b32 v43, v37, v40, v36 bitop3:0xac
	v_add3_u32 v40, 0xc19bf174, s15, v40
	v_xor3_b32 v42, v46, v45, v47
	s_delay_alu instid0(VALU_DEP_1) | instskip(SKIP_2) | instid1(VALU_DEP_3)
	v_add3_u32 v34, v41, v43, v42
	v_alignbit_b32 v41, v33, v33, 13
	v_alignbit_b32 v42, v33, v33, 22
	v_dual_add_nc_u32 v44, v34, v32 :: v_dual_bitop2_b32 v43, v32, v33 bitop3:0x14
	s_delay_alu instid0(VALU_DEP_2) | instskip(NEXT) | instid1(VALU_DEP_2)
	v_xor3_b32 v39, v41, v39, v42
	v_bfi_b32 v18, v43, v18, v33
	s_delay_alu instid0(VALU_DEP_3) | instskip(SKIP_2) | instid1(VALU_DEP_4)
	v_alignbit_b32 v41, v44, v44, 6
	v_alignbit_b32 v42, v44, v44, 11
	;; [unrolled: 1-line block ×3, first 2 shown]
	v_add3_u32 v18, v39, v18, v35
	v_bitop3_b32 v39, v44, v36, v37 bitop3:0xac
	v_add3_u32 v36, 0xe49b69c1, s16, v36
	s_delay_alu instid0(VALU_DEP_4) | instskip(NEXT) | instid1(VALU_DEP_4)
	v_xor3_b32 v35, v42, v41, v43
	v_alignbit_b32 v41, v18, v18, 2
	v_alignbit_b32 v42, v18, v18, 13
	;; [unrolled: 1-line block ×3, first 2 shown]
	v_xor_b32_e32 v45, v33, v18
	v_add3_u32 v35, v40, v39, v35
	s_delay_alu instid0(VALU_DEP_3) | instskip(NEXT) | instid1(VALU_DEP_3)
	v_xor3_b32 v39, v42, v41, v43
	v_bfi_b32 v32, v45, v32, v18
	s_delay_alu instid0(VALU_DEP_3) | instskip(NEXT) | instid1(VALU_DEP_2)
	v_add_nc_u32_e32 v40, v35, v33
	v_add3_u32 v32, v39, v32, v38
	s_delay_alu instid0(VALU_DEP_2) | instskip(SKIP_2) | instid1(VALU_DEP_4)
	v_alignbit_b32 v38, v40, v40, 6
	v_alignbit_b32 v39, v40, v40, 11
	;; [unrolled: 1-line block ×5, first 2 shown]
	v_xor_b32_e32 v45, v18, v32
	s_delay_alu instid0(VALU_DEP_4) | instskip(SKIP_4) | instid1(VALU_DEP_4)
	v_xor3_b32 v38, v39, v38, v41
	v_bitop3_b32 v39, v40, v37, v44 bitop3:0xac
	v_alignbit_b32 v41, v32, v32, 13
	v_add3_u32 v37, 0xefbe4786, s17, v37
	v_bfi_b32 v33, v45, v33, v32
	v_add3_u32 v36, v36, v39, v38
	s_delay_alu instid0(VALU_DEP_4) | instskip(NEXT) | instid1(VALU_DEP_2)
	v_xor3_b32 v38, v41, v42, v43
	v_add_nc_u32_e32 v39, v36, v18
	s_delay_alu instid0(VALU_DEP_2) | instskip(NEXT) | instid1(VALU_DEP_2)
	v_add3_u32 v33, v38, v33, v34
	v_alignbit_b32 v34, v39, v39, 6
	v_alignbit_b32 v38, v39, v39, 11
	;; [unrolled: 1-line block ×3, first 2 shown]
	s_delay_alu instid0(VALU_DEP_4)
	v_alignbit_b32 v42, v33, v33, 2
	v_alignbit_b32 v43, v33, v33, 13
	;; [unrolled: 1-line block ×3, first 2 shown]
	v_xor_b32_e32 v46, v32, v33
	v_xor3_b32 v34, v38, v34, v41
	v_bitop3_b32 v38, v39, v44, v40 bitop3:0xac
	s_delay_alu instid0(VALU_DEP_4) | instskip(NEXT) | instid1(VALU_DEP_4)
	v_xor3_b32 v41, v43, v42, v45
	v_bfi_b32 v18, v46, v18, v33
	s_delay_alu instid0(VALU_DEP_3) | instskip(NEXT) | instid1(VALU_DEP_2)
	v_add3_u32 v34, v37, v38, v34
	v_add3_u32 v18, v41, v18, v35
	s_delay_alu instid0(VALU_DEP_2) | instskip(NEXT) | instid1(VALU_DEP_2)
	v_add_nc_u32_e32 v35, v34, v32
	v_alignbit_b32 v37, v18, v18, 2
	v_alignbit_b32 v38, v18, v18, 13
	;; [unrolled: 1-line block ×3, first 2 shown]
	s_delay_alu instid0(VALU_DEP_4)
	v_alignbit_b32 v42, v35, v35, 6
	v_alignbit_b32 v43, v35, v35, 11
	;; [unrolled: 1-line block ×3, first 2 shown]
	v_xor_b32_e32 v46, v33, v18
	v_xor3_b32 v37, v38, v37, v41
	v_bitop3_b32 v41, v35, v40, v39 bitop3:0xac
	v_add3_u32 v40, 0x240ca1cc, s19, v40
	v_xor3_b32 v38, v43, v42, v45
	v_add3_u32 v42, 0xfc19dc6, s18, v44
	v_bfi_b32 v32, v46, v32, v18
	s_load_b512 s[8:23], s[38:39], 0x50
	s_delay_alu instid0(VALU_DEP_2) | instskip(NEXT) | instid1(VALU_DEP_2)
	v_add3_u32 v38, v42, v41, v38
	v_add3_u32 v32, v37, v32, v36
	s_delay_alu instid0(VALU_DEP_2) | instskip(NEXT) | instid1(VALU_DEP_2)
	v_add_nc_u32_e32 v36, v38, v33
	v_alignbit_b32 v37, v32, v32, 2
	v_alignbit_b32 v41, v32, v32, 13
	;; [unrolled: 1-line block ×3, first 2 shown]
	v_xor_b32_e32 v43, v18, v32
	v_alignbit_b32 v44, v36, v36, 6
	v_alignbit_b32 v45, v36, v36, 11
	;; [unrolled: 1-line block ×3, first 2 shown]
	v_xor3_b32 v37, v41, v37, v42
	v_bfi_b32 v33, v43, v33, v32
	v_bitop3_b32 v42, v36, v39, v35 bitop3:0xac
	s_delay_alu instid0(VALU_DEP_4) | instskip(SKIP_3) | instid1(VALU_DEP_3)
	v_xor3_b32 v41, v45, v44, v46
	s_wait_kmcnt 0x0
	v_add3_u32 v39, 0x2de92c6f, s8, v39
	v_add3_u32 v33, v37, v33, v34
	;; [unrolled: 1-line block ×3, first 2 shown]
	s_delay_alu instid0(VALU_DEP_2) | instskip(SKIP_2) | instid1(VALU_DEP_4)
	v_alignbit_b32 v37, v33, v33, 2
	v_alignbit_b32 v40, v33, v33, 13
	;; [unrolled: 1-line block ×3, first 2 shown]
	v_dual_add_nc_u32 v43, v34, v18 :: v_dual_bitop2_b32 v42, v32, v33 bitop3:0x14
	s_delay_alu instid0(VALU_DEP_2) | instskip(NEXT) | instid1(VALU_DEP_2)
	v_xor3_b32 v37, v40, v37, v41
	v_bfi_b32 v18, v42, v18, v33
	s_delay_alu instid0(VALU_DEP_3) | instskip(SKIP_2) | instid1(VALU_DEP_4)
	v_alignbit_b32 v40, v43, v43, 6
	v_alignbit_b32 v41, v43, v43, 11
	;; [unrolled: 1-line block ×3, first 2 shown]
	v_add3_u32 v18, v37, v18, v38
	v_bitop3_b32 v38, v43, v35, v36 bitop3:0xac
	v_add3_u32 v35, 0x4a7484aa, s9, v35
	s_delay_alu instid0(VALU_DEP_4) | instskip(NEXT) | instid1(VALU_DEP_4)
	v_xor3_b32 v37, v41, v40, v42
	v_alignbit_b32 v40, v18, v18, 2
	v_alignbit_b32 v41, v18, v18, 13
	;; [unrolled: 1-line block ×3, first 2 shown]
	v_xor_b32_e32 v44, v33, v18
	v_add3_u32 v37, v39, v38, v37
	s_delay_alu instid0(VALU_DEP_3) | instskip(NEXT) | instid1(VALU_DEP_3)
	v_xor3_b32 v38, v41, v40, v42
	v_bfi_b32 v39, v44, v32, v18
	s_delay_alu instid0(VALU_DEP_3) | instskip(NEXT) | instid1(VALU_DEP_2)
	v_add_nc_u32_e32 v32, v37, v32
	v_add3_u32 v34, v38, v39, v34
	s_delay_alu instid0(VALU_DEP_2) | instskip(SKIP_2) | instid1(VALU_DEP_4)
	v_alignbit_b32 v38, v32, v32, 6
	v_alignbit_b32 v39, v32, v32, 11
	;; [unrolled: 1-line block ×5, first 2 shown]
	v_xor_b32_e32 v44, v18, v34
	s_delay_alu instid0(VALU_DEP_4) | instskip(SKIP_3) | instid1(VALU_DEP_3)
	v_xor3_b32 v38, v39, v38, v40
	v_bitop3_b32 v39, v32, v36, v43 bitop3:0xac
	v_alignbit_b32 v40, v34, v34, 13
	v_add3_u32 v36, 0x5cb0a9dc, s10, v36
	v_add3_u32 v35, v35, v39, v38
	s_delay_alu instid0(VALU_DEP_3) | instskip(SKIP_1) | instid1(VALU_DEP_3)
	v_xor3_b32 v38, v40, v41, v42
	v_bfi_b32 v39, v44, v33, v34
	v_add_nc_u32_e32 v33, v35, v33
	s_delay_alu instid0(VALU_DEP_2) | instskip(NEXT) | instid1(VALU_DEP_2)
	v_add3_u32 v37, v38, v39, v37
	v_alignbit_b32 v38, v33, v33, 6
	v_alignbit_b32 v39, v33, v33, 11
	;; [unrolled: 1-line block ×3, first 2 shown]
	s_delay_alu instid0(VALU_DEP_4)
	v_alignbit_b32 v41, v37, v37, 2
	v_alignbit_b32 v42, v37, v37, 13
	;; [unrolled: 1-line block ×3, first 2 shown]
	v_xor_b32_e32 v45, v34, v37
	v_xor3_b32 v38, v39, v38, v40
	v_bitop3_b32 v39, v33, v43, v32 bitop3:0xac
	s_delay_alu instid0(VALU_DEP_4) | instskip(NEXT) | instid1(VALU_DEP_4)
	v_xor3_b32 v40, v42, v41, v44
	v_bfi_b32 v41, v45, v18, v37
	s_delay_alu instid0(VALU_DEP_3) | instskip(SKIP_1) | instid1(VALU_DEP_3)
	v_add3_u32 v36, v36, v39, v38
	v_add3_u32 v38, 0x76f988da, s11, v43
	;; [unrolled: 1-line block ×3, first 2 shown]
	s_delay_alu instid0(VALU_DEP_3) | instskip(NEXT) | instid1(VALU_DEP_2)
	v_add_nc_u32_e32 v18, v36, v18
	v_alignbit_b32 v39, v35, v35, 2
	v_alignbit_b32 v43, v35, v35, 13
	s_delay_alu instid0(VALU_DEP_3)
	v_alignbit_b32 v40, v18, v18, 6
	v_alignbit_b32 v41, v18, v18, 11
	v_alignbit_b32 v42, v18, v18, 25
	v_bitop3_b32 v46, v18, v32, v33 bitop3:0xac
	v_alignbit_b32 v44, v35, v35, 22
	v_xor_b32_e32 v45, v37, v35
	v_add3_u32 v32, 0x983e5152, s12, v32
	v_xor3_b32 v40, v41, v40, v42
	s_delay_alu instid0(VALU_DEP_4) | instskip(NEXT) | instid1(VALU_DEP_4)
	v_xor3_b32 v39, v43, v39, v44
	v_bfi_b32 v41, v45, v34, v35
	s_delay_alu instid0(VALU_DEP_3) | instskip(NEXT) | instid1(VALU_DEP_2)
	v_add3_u32 v38, v38, v46, v40
	v_add3_u32 v36, v39, v41, v36
	s_delay_alu instid0(VALU_DEP_2) | instskip(NEXT) | instid1(VALU_DEP_2)
	v_add_nc_u32_e32 v34, v38, v34
	v_alignbit_b32 v39, v36, v36, 2
	v_alignbit_b32 v43, v36, v36, 13
	s_delay_alu instid0(VALU_DEP_3)
	v_alignbit_b32 v40, v34, v34, 6
	v_alignbit_b32 v41, v34, v34, 11
	v_alignbit_b32 v42, v34, v34, 25
	v_bitop3_b32 v46, v34, v33, v18 bitop3:0xac
	v_alignbit_b32 v44, v36, v36, 22
	v_xor_b32_e32 v45, v35, v36
	v_add3_u32 v33, 0xa831c66d, s13, v33
	v_xor3_b32 v40, v41, v40, v42
	s_delay_alu instid0(VALU_DEP_4) | instskip(NEXT) | instid1(VALU_DEP_4)
	v_xor3_b32 v39, v43, v39, v44
	v_bfi_b32 v41, v45, v37, v36
	s_delay_alu instid0(VALU_DEP_3) | instskip(NEXT) | instid1(VALU_DEP_2)
	v_add3_u32 v32, v32, v46, v40
	v_add3_u32 v38, v39, v41, v38
	s_delay_alu instid0(VALU_DEP_2) | instskip(NEXT) | instid1(VALU_DEP_2)
	;; [unrolled: 19-line block ×7, first 2 shown]
	v_add_nc_u32_e32 v33, v35, v33
	v_alignbit_b32 v39, v37, v37, 2
	v_alignbit_b32 v43, v37, v37, 13
	s_delay_alu instid0(VALU_DEP_3)
	v_alignbit_b32 v40, v33, v33, 6
	v_alignbit_b32 v41, v33, v33, 11
	;; [unrolled: 1-line block ×3, first 2 shown]
	v_bitop3_b32 v46, v33, v38, v32 bitop3:0xac
	v_alignbit_b32 v44, v37, v37, 22
	v_xor_b32_e32 v45, v34, v37
	v_add3_u32 v38, 0x14292967, s19, v38
	v_xor3_b32 v40, v41, v40, v42
	s_load_b512 s[4:19], s[38:39], 0x90
	v_xor3_b32 v39, v43, v39, v44
	v_bfi_b32 v41, v45, v18, v37
	s_delay_alu instid0(VALU_DEP_3) | instskip(NEXT) | instid1(VALU_DEP_2)
	v_add3_u32 v36, v36, v46, v40
	v_add3_u32 v35, v39, v41, v35
	s_delay_alu instid0(VALU_DEP_2) | instskip(NEXT) | instid1(VALU_DEP_2)
	v_add_nc_u32_e32 v18, v36, v18
	v_alignbit_b32 v39, v35, v35, 2
	v_alignbit_b32 v43, v35, v35, 13
	s_delay_alu instid0(VALU_DEP_3)
	v_alignbit_b32 v40, v18, v18, 6
	v_alignbit_b32 v41, v18, v18, 11
	v_alignbit_b32 v42, v18, v18, 25
	v_bitop3_b32 v46, v18, v32, v33 bitop3:0xac
	v_alignbit_b32 v44, v35, v35, 22
	v_xor_b32_e32 v45, v37, v35
	v_add3_u32 v32, 0x27b70a85, s20, v32
	v_xor3_b32 v40, v41, v40, v42
	s_delay_alu instid0(VALU_DEP_4) | instskip(NEXT) | instid1(VALU_DEP_4)
	v_xor3_b32 v39, v43, v39, v44
	v_bfi_b32 v41, v45, v34, v35
	s_delay_alu instid0(VALU_DEP_3) | instskip(NEXT) | instid1(VALU_DEP_2)
	v_add3_u32 v38, v38, v46, v40
	v_add3_u32 v36, v39, v41, v36
	s_delay_alu instid0(VALU_DEP_2) | instskip(NEXT) | instid1(VALU_DEP_2)
	v_add_nc_u32_e32 v34, v38, v34
	v_alignbit_b32 v39, v36, v36, 2
	v_alignbit_b32 v43, v36, v36, 13
	s_delay_alu instid0(VALU_DEP_3)
	v_alignbit_b32 v40, v34, v34, 6
	v_alignbit_b32 v41, v34, v34, 11
	v_alignbit_b32 v42, v34, v34, 25
	v_bitop3_b32 v46, v34, v33, v18 bitop3:0xac
	v_alignbit_b32 v44, v36, v36, 22
	v_xor_b32_e32 v45, v35, v36
	v_add3_u32 v33, 0x2e1b2138, s21, v33
	v_xor3_b32 v40, v41, v40, v42
	s_delay_alu instid0(VALU_DEP_4) | instskip(NEXT) | instid1(VALU_DEP_4)
	;; [unrolled: 19-line block ×4, first 2 shown]
	v_xor3_b32 v39, v43, v39, v44
	v_bfi_b32 v41, v45, v36, v32
	s_delay_alu instid0(VALU_DEP_3) | instskip(NEXT) | instid1(VALU_DEP_2)
	v_add3_u32 v18, v18, v46, v40
	v_add3_u32 v33, v39, v41, v33
	s_delay_alu instid0(VALU_DEP_2) | instskip(NEXT) | instid1(VALU_DEP_2)
	v_add_nc_u32_e32 v36, v18, v36
	v_alignbit_b32 v39, v33, v33, 2
	v_alignbit_b32 v43, v33, v33, 13
	s_delay_alu instid0(VALU_DEP_3)
	v_alignbit_b32 v40, v36, v36, 6
	v_alignbit_b32 v41, v36, v36, 11
	;; [unrolled: 1-line block ×3, first 2 shown]
	v_bitop3_b32 v46, v36, v37, v35 bitop3:0xac
	v_alignbit_b32 v44, v33, v33, 22
	v_xor_b32_e32 v45, v32, v33
	s_wait_kmcnt 0x0
	v_add3_u32 v37, 0x650a7354, s4, v37
	v_xor3_b32 v40, v41, v40, v42
	v_xor3_b32 v39, v43, v39, v44
	v_bfi_b32 v41, v45, v38, v33
	s_delay_alu instid0(VALU_DEP_3) | instskip(NEXT) | instid1(VALU_DEP_2)
	v_add3_u32 v34, v34, v46, v40
	v_add3_u32 v18, v39, v41, v18
	s_delay_alu instid0(VALU_DEP_2) | instskip(NEXT) | instid1(VALU_DEP_2)
	v_add_nc_u32_e32 v38, v34, v38
	v_alignbit_b32 v39, v18, v18, 2
	v_alignbit_b32 v43, v18, v18, 13
	s_delay_alu instid0(VALU_DEP_3)
	v_alignbit_b32 v40, v38, v38, 6
	v_alignbit_b32 v41, v38, v38, 11
	v_alignbit_b32 v42, v38, v38, 25
	v_bitop3_b32 v46, v38, v35, v36 bitop3:0xac
	v_alignbit_b32 v44, v18, v18, 22
	v_xor_b32_e32 v45, v33, v18
	v_add3_u32 v35, 0x766a0abb, s5, v35
	v_xor3_b32 v40, v41, v40, v42
	s_delay_alu instid0(VALU_DEP_4) | instskip(NEXT) | instid1(VALU_DEP_4)
	v_xor3_b32 v39, v43, v39, v44
	v_bfi_b32 v41, v45, v32, v18
	s_delay_alu instid0(VALU_DEP_3) | instskip(NEXT) | instid1(VALU_DEP_2)
	v_add3_u32 v37, v37, v46, v40
	v_add3_u32 v34, v39, v41, v34
	s_delay_alu instid0(VALU_DEP_2) | instskip(NEXT) | instid1(VALU_DEP_2)
	v_add_nc_u32_e32 v32, v37, v32
	v_alignbit_b32 v39, v34, v34, 2
	v_alignbit_b32 v43, v34, v34, 13
	s_delay_alu instid0(VALU_DEP_3)
	v_alignbit_b32 v40, v32, v32, 6
	v_alignbit_b32 v41, v32, v32, 11
	v_alignbit_b32 v42, v32, v32, 25
	v_bitop3_b32 v46, v32, v36, v38 bitop3:0xac
	v_alignbit_b32 v44, v34, v34, 22
	v_xor_b32_e32 v45, v18, v34
	v_add3_u32 v36, 0x81c2c92e, s6, v36
	v_xor3_b32 v40, v41, v40, v42
	s_delay_alu instid0(VALU_DEP_4) | instskip(NEXT) | instid1(VALU_DEP_4)
	v_xor3_b32 v39, v43, v39, v44
	v_bfi_b32 v41, v45, v33, v34
	s_delay_alu instid0(VALU_DEP_3) | instskip(NEXT) | instid1(VALU_DEP_2)
	v_add3_u32 v35, v35, v46, v40
	v_add3_u32 v37, v39, v41, v37
	s_delay_alu instid0(VALU_DEP_2) | instskip(NEXT) | instid1(VALU_DEP_2)
	v_add_nc_u32_e32 v33, v35, v33
	v_alignbit_b32 v39, v37, v37, 2
	v_alignbit_b32 v43, v37, v37, 13
	s_delay_alu instid0(VALU_DEP_3)
	v_alignbit_b32 v40, v33, v33, 6
	v_alignbit_b32 v41, v33, v33, 11
	v_alignbit_b32 v42, v33, v33, 25
	v_bitop3_b32 v46, v33, v38, v32 bitop3:0xac
	v_alignbit_b32 v44, v37, v37, 22
	v_xor_b32_e32 v45, v34, v37
	v_add3_u32 v38, 0x92722c85, s7, v38
	v_xor3_b32 v40, v41, v40, v42
	s_delay_alu instid0(VALU_DEP_4) | instskip(NEXT) | instid1(VALU_DEP_4)
	v_xor3_b32 v39, v43, v39, v44
	v_bfi_b32 v41, v45, v18, v37
	s_delay_alu instid0(VALU_DEP_3) | instskip(NEXT) | instid1(VALU_DEP_2)
	v_add3_u32 v36, v36, v46, v40
	v_add3_u32 v35, v39, v41, v35
	s_delay_alu instid0(VALU_DEP_2) | instskip(NEXT) | instid1(VALU_DEP_2)
	v_add_nc_u32_e32 v18, v36, v18
	v_alignbit_b32 v39, v35, v35, 2
	v_alignbit_b32 v43, v35, v35, 13
	s_delay_alu instid0(VALU_DEP_3)
	v_alignbit_b32 v40, v18, v18, 6
	v_alignbit_b32 v41, v18, v18, 11
	v_alignbit_b32 v42, v18, v18, 25
	v_bitop3_b32 v46, v18, v32, v33 bitop3:0xac
	v_alignbit_b32 v44, v35, v35, 22
	v_xor_b32_e32 v45, v37, v35
	v_add3_u32 v32, 0xa2bfe8a1, s8, v32
	v_xor3_b32 v40, v41, v40, v42
	s_delay_alu instid0(VALU_DEP_4) | instskip(NEXT) | instid1(VALU_DEP_4)
	v_xor3_b32 v39, v43, v39, v44
	v_bfi_b32 v41, v45, v34, v35
	s_delay_alu instid0(VALU_DEP_3) | instskip(NEXT) | instid1(VALU_DEP_2)
	v_add3_u32 v38, v38, v46, v40
	v_add3_u32 v36, v39, v41, v36
	s_delay_alu instid0(VALU_DEP_2) | instskip(NEXT) | instid1(VALU_DEP_2)
	v_add_nc_u32_e32 v34, v38, v34
	v_alignbit_b32 v39, v36, v36, 2
	v_alignbit_b32 v43, v36, v36, 13
	s_delay_alu instid0(VALU_DEP_3)
	v_alignbit_b32 v40, v34, v34, 6
	v_alignbit_b32 v41, v34, v34, 11
	v_alignbit_b32 v42, v34, v34, 25
	v_bitop3_b32 v46, v34, v33, v18 bitop3:0xac
	v_alignbit_b32 v44, v36, v36, 22
	v_xor_b32_e32 v45, v35, v36
	v_add3_u32 v33, 0xa81a664b, s9, v33
	v_xor3_b32 v40, v41, v40, v42
	s_delay_alu instid0(VALU_DEP_4) | instskip(NEXT) | instid1(VALU_DEP_4)
	v_xor3_b32 v39, v43, v39, v44
	v_bfi_b32 v41, v45, v37, v36
	s_delay_alu instid0(VALU_DEP_3) | instskip(NEXT) | instid1(VALU_DEP_2)
	v_add3_u32 v32, v32, v46, v40
	v_add3_u32 v38, v39, v41, v38
	s_delay_alu instid0(VALU_DEP_2) | instskip(NEXT) | instid1(VALU_DEP_2)
	v_add_nc_u32_e32 v37, v32, v37
	v_alignbit_b32 v39, v38, v38, 2
	v_alignbit_b32 v43, v38, v38, 13
	s_delay_alu instid0(VALU_DEP_3)
	v_alignbit_b32 v40, v37, v37, 6
	v_alignbit_b32 v41, v37, v37, 11
	v_alignbit_b32 v42, v37, v37, 25
	v_bitop3_b32 v46, v37, v18, v34 bitop3:0xac
	v_alignbit_b32 v44, v38, v38, 22
	v_xor_b32_e32 v45, v36, v38
	v_add3_u32 v18, 0xc24b8b70, s10, v18
	v_xor3_b32 v40, v41, v40, v42
	s_delay_alu instid0(VALU_DEP_4) | instskip(NEXT) | instid1(VALU_DEP_4)
	v_xor3_b32 v39, v43, v39, v44
	v_bfi_b32 v41, v45, v35, v38
	s_delay_alu instid0(VALU_DEP_3) | instskip(NEXT) | instid1(VALU_DEP_2)
	v_add3_u32 v33, v33, v46, v40
	v_add3_u32 v32, v39, v41, v32
	s_delay_alu instid0(VALU_DEP_2) | instskip(NEXT) | instid1(VALU_DEP_2)
	v_add_nc_u32_e32 v35, v33, v35
	v_alignbit_b32 v39, v32, v32, 2
	v_alignbit_b32 v43, v32, v32, 13
	s_delay_alu instid0(VALU_DEP_3)
	v_alignbit_b32 v40, v35, v35, 6
	v_alignbit_b32 v41, v35, v35, 11
	;; [unrolled: 1-line block ×3, first 2 shown]
	v_bitop3_b32 v46, v35, v34, v37 bitop3:0xac
	v_alignbit_b32 v44, v32, v32, 22
	v_xor_b32_e32 v45, v38, v32
	v_add3_u32 v34, 0xc76c51a3, s11, v34
	v_xor3_b32 v40, v41, v40, v42
	s_load_b256 s[4:11], s[38:39], 0xd0
	v_xor3_b32 v39, v43, v39, v44
	v_bfi_b32 v41, v45, v36, v32
	s_delay_alu instid0(VALU_DEP_3) | instskip(NEXT) | instid1(VALU_DEP_2)
	v_add3_u32 v18, v18, v46, v40
	v_add3_u32 v33, v39, v41, v33
	s_delay_alu instid0(VALU_DEP_2) | instskip(NEXT) | instid1(VALU_DEP_2)
	v_add_nc_u32_e32 v36, v18, v36
	v_alignbit_b32 v39, v33, v33, 2
	v_alignbit_b32 v43, v33, v33, 13
	s_delay_alu instid0(VALU_DEP_3)
	v_alignbit_b32 v40, v36, v36, 6
	v_alignbit_b32 v41, v36, v36, 11
	v_alignbit_b32 v42, v36, v36, 25
	v_bitop3_b32 v46, v36, v37, v35 bitop3:0xac
	v_alignbit_b32 v44, v33, v33, 22
	v_xor_b32_e32 v45, v32, v33
	v_add3_u32 v37, 0xd192e819, s12, v37
	v_xor3_b32 v40, v41, v40, v42
	s_delay_alu instid0(VALU_DEP_4) | instskip(NEXT) | instid1(VALU_DEP_4)
	v_xor3_b32 v39, v43, v39, v44
	v_bfi_b32 v41, v45, v38, v33
	s_delay_alu instid0(VALU_DEP_3) | instskip(NEXT) | instid1(VALU_DEP_2)
	v_add3_u32 v34, v34, v46, v40
	v_add3_u32 v18, v39, v41, v18
	s_delay_alu instid0(VALU_DEP_2) | instskip(NEXT) | instid1(VALU_DEP_2)
	v_add_nc_u32_e32 v38, v34, v38
	v_alignbit_b32 v39, v18, v18, 2
	v_alignbit_b32 v43, v18, v18, 13
	s_delay_alu instid0(VALU_DEP_3)
	v_alignbit_b32 v40, v38, v38, 6
	v_alignbit_b32 v41, v38, v38, 11
	v_alignbit_b32 v42, v38, v38, 25
	v_bitop3_b32 v46, v38, v35, v36 bitop3:0xac
	v_alignbit_b32 v44, v18, v18, 22
	v_xor_b32_e32 v45, v33, v18
	v_add3_u32 v35, 0xd6990624, s13, v35
	v_xor3_b32 v40, v41, v40, v42
	s_delay_alu instid0(VALU_DEP_4) | instskip(NEXT) | instid1(VALU_DEP_4)
	v_xor3_b32 v39, v43, v39, v44
	v_bfi_b32 v41, v45, v32, v18
	s_delay_alu instid0(VALU_DEP_3) | instskip(NEXT) | instid1(VALU_DEP_2)
	v_add3_u32 v37, v37, v46, v40
	v_add3_u32 v34, v39, v41, v34
	s_delay_alu instid0(VALU_DEP_2) | instskip(NEXT) | instid1(VALU_DEP_2)
	v_add_nc_u32_e32 v32, v37, v32
	v_alignbit_b32 v39, v34, v34, 2
	v_alignbit_b32 v43, v34, v34, 13
	s_delay_alu instid0(VALU_DEP_3)
	v_alignbit_b32 v40, v32, v32, 6
	v_alignbit_b32 v41, v32, v32, 11
	v_alignbit_b32 v42, v32, v32, 25
	v_bitop3_b32 v46, v32, v36, v38 bitop3:0xac
	v_alignbit_b32 v44, v34, v34, 22
	v_xor_b32_e32 v45, v18, v34
	v_add3_u32 v36, 0xf40e3585, s14, v36
	v_xor3_b32 v40, v41, v40, v42
	s_delay_alu instid0(VALU_DEP_4) | instskip(NEXT) | instid1(VALU_DEP_4)
	v_xor3_b32 v39, v43, v39, v44
	v_bfi_b32 v41, v45, v33, v34
	s_delay_alu instid0(VALU_DEP_3) | instskip(NEXT) | instid1(VALU_DEP_2)
	v_add3_u32 v35, v35, v46, v40
	v_add3_u32 v37, v39, v41, v37
	s_delay_alu instid0(VALU_DEP_2) | instskip(NEXT) | instid1(VALU_DEP_2)
	v_add_nc_u32_e32 v33, v35, v33
	v_alignbit_b32 v39, v37, v37, 2
	v_alignbit_b32 v43, v37, v37, 13
	s_delay_alu instid0(VALU_DEP_3)
	v_alignbit_b32 v40, v33, v33, 6
	v_alignbit_b32 v41, v33, v33, 11
	v_alignbit_b32 v42, v33, v33, 25
	v_bitop3_b32 v46, v33, v38, v32 bitop3:0xac
	v_alignbit_b32 v44, v37, v37, 22
	v_xor_b32_e32 v45, v34, v37
	v_add3_u32 v38, 0x106aa070, s15, v38
	v_xor3_b32 v40, v41, v40, v42
	s_delay_alu instid0(VALU_DEP_4) | instskip(NEXT) | instid1(VALU_DEP_4)
	v_xor3_b32 v39, v43, v39, v44
	v_bfi_b32 v41, v45, v18, v37
	s_delay_alu instid0(VALU_DEP_3) | instskip(NEXT) | instid1(VALU_DEP_2)
	v_add3_u32 v36, v36, v46, v40
	v_add3_u32 v35, v39, v41, v35
	s_delay_alu instid0(VALU_DEP_2) | instskip(NEXT) | instid1(VALU_DEP_2)
	v_add_nc_u32_e32 v18, v36, v18
	v_alignbit_b32 v39, v35, v35, 2
	v_alignbit_b32 v43, v35, v35, 13
	s_delay_alu instid0(VALU_DEP_3)
	v_alignbit_b32 v40, v18, v18, 6
	v_alignbit_b32 v41, v18, v18, 11
	v_alignbit_b32 v42, v18, v18, 25
	v_bitop3_b32 v46, v18, v32, v33 bitop3:0xac
	v_alignbit_b32 v44, v35, v35, 22
	v_xor_b32_e32 v45, v37, v35
	v_add3_u32 v32, 0x19a4c116, s16, v32
	v_xor3_b32 v40, v41, v40, v42
	s_delay_alu instid0(VALU_DEP_4) | instskip(NEXT) | instid1(VALU_DEP_4)
	v_xor3_b32 v39, v43, v39, v44
	v_bfi_b32 v41, v45, v34, v35
	s_delay_alu instid0(VALU_DEP_3) | instskip(NEXT) | instid1(VALU_DEP_2)
	v_add3_u32 v38, v38, v46, v40
	v_add3_u32 v36, v39, v41, v36
	s_delay_alu instid0(VALU_DEP_2) | instskip(NEXT) | instid1(VALU_DEP_2)
	v_add_nc_u32_e32 v34, v38, v34
	v_alignbit_b32 v39, v36, v36, 2
	v_alignbit_b32 v43, v36, v36, 13
	s_delay_alu instid0(VALU_DEP_3)
	v_alignbit_b32 v40, v34, v34, 6
	v_alignbit_b32 v41, v34, v34, 11
	v_alignbit_b32 v42, v34, v34, 25
	v_bitop3_b32 v46, v34, v33, v18 bitop3:0xac
	v_alignbit_b32 v44, v36, v36, 22
	v_xor_b32_e32 v45, v35, v36
	v_add3_u32 v33, 0x1e376c08, s17, v33
	v_xor3_b32 v40, v41, v40, v42
	s_delay_alu instid0(VALU_DEP_4) | instskip(NEXT) | instid1(VALU_DEP_4)
	v_xor3_b32 v39, v43, v39, v44
	v_bfi_b32 v41, v45, v37, v36
	s_delay_alu instid0(VALU_DEP_3) | instskip(NEXT) | instid1(VALU_DEP_2)
	v_add3_u32 v32, v32, v46, v40
	v_add3_u32 v38, v39, v41, v38
	s_delay_alu instid0(VALU_DEP_2) | instskip(NEXT) | instid1(VALU_DEP_2)
	v_add_nc_u32_e32 v37, v32, v37
	v_alignbit_b32 v39, v38, v38, 2
	v_alignbit_b32 v43, v38, v38, 13
	s_delay_alu instid0(VALU_DEP_3)
	v_alignbit_b32 v40, v37, v37, 6
	v_alignbit_b32 v41, v37, v37, 11
	v_alignbit_b32 v42, v37, v37, 25
	v_bitop3_b32 v46, v37, v18, v34 bitop3:0xac
	v_alignbit_b32 v44, v38, v38, 22
	v_xor_b32_e32 v45, v36, v38
	v_add3_u32 v18, 0x2748774c, s18, v18
	v_xor3_b32 v40, v41, v40, v42
	s_delay_alu instid0(VALU_DEP_4) | instskip(NEXT) | instid1(VALU_DEP_4)
	v_xor3_b32 v39, v43, v39, v44
	v_bfi_b32 v41, v45, v35, v38
	s_delay_alu instid0(VALU_DEP_3) | instskip(NEXT) | instid1(VALU_DEP_2)
	v_add3_u32 v33, v33, v46, v40
	v_add3_u32 v32, v39, v41, v32
	s_delay_alu instid0(VALU_DEP_2) | instskip(NEXT) | instid1(VALU_DEP_2)
	v_add_nc_u32_e32 v35, v33, v35
	v_alignbit_b32 v39, v32, v32, 2
	v_alignbit_b32 v43, v32, v32, 13
	s_delay_alu instid0(VALU_DEP_3)
	v_alignbit_b32 v40, v35, v35, 6
	v_alignbit_b32 v41, v35, v35, 11
	v_alignbit_b32 v42, v35, v35, 25
	v_bitop3_b32 v46, v35, v34, v37 bitop3:0xac
	v_alignbit_b32 v44, v32, v32, 22
	v_xor_b32_e32 v45, v38, v32
	v_add3_u32 v34, 0x34b0bcb5, s19, v34
	v_xor3_b32 v40, v41, v40, v42
	s_delay_alu instid0(VALU_DEP_4) | instskip(NEXT) | instid1(VALU_DEP_4)
	v_xor3_b32 v39, v43, v39, v44
	v_bfi_b32 v41, v45, v36, v32
	s_delay_alu instid0(VALU_DEP_3) | instskip(NEXT) | instid1(VALU_DEP_2)
	v_add3_u32 v18, v18, v46, v40
	v_add3_u32 v33, v39, v41, v33
	s_delay_alu instid0(VALU_DEP_2) | instskip(NEXT) | instid1(VALU_DEP_2)
	v_add_nc_u32_e32 v36, v18, v36
	v_alignbit_b32 v39, v33, v33, 2
	v_alignbit_b32 v43, v33, v33, 13
	s_delay_alu instid0(VALU_DEP_3)
	v_alignbit_b32 v40, v36, v36, 6
	v_alignbit_b32 v41, v36, v36, 11
	;; [unrolled: 1-line block ×3, first 2 shown]
	v_bitop3_b32 v46, v36, v37, v35 bitop3:0xac
	v_alignbit_b32 v44, v33, v33, 22
	v_xor_b32_e32 v45, v32, v33
	s_wait_kmcnt 0x0
	v_add3_u32 v37, 0x391c0cb3, s4, v37
	v_xor3_b32 v40, v41, v40, v42
	v_xor3_b32 v39, v43, v39, v44
	v_bfi_b32 v41, v45, v38, v33
	s_delay_alu instid0(VALU_DEP_3) | instskip(NEXT) | instid1(VALU_DEP_2)
	v_add3_u32 v34, v34, v46, v40
	v_add3_u32 v18, v39, v41, v18
	s_delay_alu instid0(VALU_DEP_2) | instskip(NEXT) | instid1(VALU_DEP_2)
	v_add_nc_u32_e32 v38, v34, v38
	v_alignbit_b32 v39, v18, v18, 2
	v_alignbit_b32 v43, v18, v18, 13
	s_delay_alu instid0(VALU_DEP_3)
	v_alignbit_b32 v40, v38, v38, 6
	v_alignbit_b32 v41, v38, v38, 11
	;; [unrolled: 1-line block ×3, first 2 shown]
	v_bitop3_b32 v46, v38, v35, v36 bitop3:0xac
	v_alignbit_b32 v44, v18, v18, 22
	v_xor_b32_e32 v45, v33, v18
	v_add3_u32 v35, 0x4ed8aa4a, s5, v35
	v_xor3_b32 v40, v41, v40, v42
	s_delay_alu instid0(VALU_DEP_4) | instskip(NEXT) | instid1(VALU_DEP_4)
	v_xor3_b32 v39, v43, v39, v44
	v_bfi_b32 v41, v45, v32, v18
	s_delay_alu instid0(VALU_DEP_3) | instskip(NEXT) | instid1(VALU_DEP_2)
	v_add3_u32 v37, v37, v46, v40
	v_add3_u32 v34, v39, v41, v34
	s_delay_alu instid0(VALU_DEP_2) | instskip(NEXT) | instid1(VALU_DEP_2)
	v_add_nc_u32_e32 v32, v37, v32
	v_alignbit_b32 v39, v34, v34, 2
	v_alignbit_b32 v43, v34, v34, 13
	s_delay_alu instid0(VALU_DEP_3)
	v_alignbit_b32 v40, v32, v32, 6
	v_alignbit_b32 v41, v32, v32, 11
	;; [unrolled: 1-line block ×3, first 2 shown]
	v_bitop3_b32 v46, v32, v36, v38 bitop3:0xac
	v_alignbit_b32 v44, v34, v34, 22
	v_xor_b32_e32 v45, v18, v34
	v_add3_u32 v36, 0x5b9cca4f, s6, v36
	v_xor3_b32 v40, v41, v40, v42
	s_delay_alu instid0(VALU_DEP_4) | instskip(NEXT) | instid1(VALU_DEP_4)
	v_xor3_b32 v39, v43, v39, v44
	v_bfi_b32 v41, v45, v33, v34
	s_delay_alu instid0(VALU_DEP_3) | instskip(NEXT) | instid1(VALU_DEP_2)
	v_add3_u32 v35, v35, v46, v40
	v_add3_u32 v37, v39, v41, v37
	s_delay_alu instid0(VALU_DEP_2) | instskip(NEXT) | instid1(VALU_DEP_2)
	v_add_nc_u32_e32 v33, v35, v33
	v_alignbit_b32 v39, v37, v37, 2
	v_alignbit_b32 v43, v37, v37, 13
	s_delay_alu instid0(VALU_DEP_3)
	v_alignbit_b32 v40, v33, v33, 6
	v_alignbit_b32 v41, v33, v33, 11
	v_alignbit_b32 v42, v33, v33, 25
	v_bitop3_b32 v46, v33, v38, v32 bitop3:0xac
	v_alignbit_b32 v44, v37, v37, 22
	v_xor_b32_e32 v45, v34, v37
	v_add3_u32 v38, 0x682e6ff3, s7, v38
	v_xor3_b32 v40, v41, v40, v42
	s_load_b128 s[4:7], s[38:39], 0xf0
	v_xor3_b32 v39, v43, v39, v44
	v_bfi_b32 v41, v45, v18, v37
	s_delay_alu instid0(VALU_DEP_3) | instskip(NEXT) | instid1(VALU_DEP_2)
	v_add3_u32 v36, v36, v46, v40
	v_add3_u32 v35, v39, v41, v35
	s_delay_alu instid0(VALU_DEP_2) | instskip(NEXT) | instid1(VALU_DEP_2)
	v_add_nc_u32_e32 v18, v36, v18
	v_alignbit_b32 v39, v35, v35, 2
	v_alignbit_b32 v43, v35, v35, 13
	s_delay_alu instid0(VALU_DEP_3)
	v_alignbit_b32 v40, v18, v18, 6
	v_alignbit_b32 v41, v18, v18, 11
	;; [unrolled: 1-line block ×3, first 2 shown]
	v_bitop3_b32 v46, v18, v32, v33 bitop3:0xac
	v_alignbit_b32 v44, v35, v35, 22
	v_xor_b32_e32 v45, v37, v35
	v_add3_u32 v32, 0x748f82ee, s8, v32
	v_xor3_b32 v40, v41, v40, v42
	s_delay_alu instid0(VALU_DEP_4) | instskip(NEXT) | instid1(VALU_DEP_4)
	v_xor3_b32 v39, v43, v39, v44
	v_bfi_b32 v41, v45, v34, v35
	s_delay_alu instid0(VALU_DEP_3) | instskip(NEXT) | instid1(VALU_DEP_2)
	v_add3_u32 v38, v38, v46, v40
	v_add3_u32 v36, v39, v41, v36
	s_delay_alu instid0(VALU_DEP_2) | instskip(NEXT) | instid1(VALU_DEP_2)
	v_add_nc_u32_e32 v34, v38, v34
	v_alignbit_b32 v39, v36, v36, 2
	v_alignbit_b32 v43, v36, v36, 13
	s_delay_alu instid0(VALU_DEP_3)
	v_alignbit_b32 v40, v34, v34, 6
	v_alignbit_b32 v41, v34, v34, 11
	;; [unrolled: 1-line block ×3, first 2 shown]
	v_bitop3_b32 v46, v34, v33, v18 bitop3:0xac
	v_alignbit_b32 v44, v36, v36, 22
	v_xor_b32_e32 v45, v35, v36
	v_add3_u32 v33, 0x78a5636f, s9, v33
	v_xor3_b32 v40, v41, v40, v42
	s_delay_alu instid0(VALU_DEP_4) | instskip(NEXT) | instid1(VALU_DEP_4)
	v_xor3_b32 v39, v43, v39, v44
	v_bfi_b32 v41, v45, v37, v36
	s_delay_alu instid0(VALU_DEP_3) | instskip(NEXT) | instid1(VALU_DEP_2)
	v_add3_u32 v32, v32, v46, v40
	v_add3_u32 v38, v39, v41, v38
	s_delay_alu instid0(VALU_DEP_2) | instskip(NEXT) | instid1(VALU_DEP_2)
	v_add_nc_u32_e32 v37, v32, v37
	v_alignbit_b32 v39, v38, v38, 2
	v_alignbit_b32 v40, v38, v38, 13
	s_delay_alu instid0(VALU_DEP_3)
	v_alignbit_b32 v41, v37, v37, 6
	v_alignbit_b32 v42, v37, v37, 11
	;; [unrolled: 1-line block ×4, first 2 shown]
	v_xor_b32_e32 v45, v36, v38
	v_bitop3_b32 v46, v37, v18, v34 bitop3:0xac
	v_add3_u32 v18, 0x84c87814, s10, v18
	v_xor3_b32 v41, v42, v41, v43
	v_xor3_b32 v39, v40, v39, v44
	v_bfi_b32 v40, v45, v35, v38
	s_delay_alu instid0(VALU_DEP_3) | instskip(NEXT) | instid1(VALU_DEP_2)
	v_add3_u32 v33, v33, v46, v41
	v_add3_u32 v32, v39, v40, v32
	s_delay_alu instid0(VALU_DEP_2) | instskip(NEXT) | instid1(VALU_DEP_2)
	v_add_nc_u32_e32 v35, v33, v35
	v_alignbit_b32 v39, v32, v32, 2
	v_alignbit_b32 v40, v32, v32, 13
	;; [unrolled: 1-line block ×3, first 2 shown]
	s_delay_alu instid0(VALU_DEP_4)
	v_alignbit_b32 v42, v35, v35, 6
	v_alignbit_b32 v43, v35, v35, 11
	;; [unrolled: 1-line block ×3, first 2 shown]
	v_xor_b32_e32 v45, v38, v32
	v_xor3_b32 v39, v40, v39, v41
	v_bitop3_b32 v40, v35, v34, v37 bitop3:0xac
	v_add3_u32 v34, 0x8cc70208, s11, v34
	v_xor3_b32 v41, v43, v42, v44
	v_bfi_b32 v42, v45, v36, v32
	s_delay_alu instid0(VALU_DEP_2) | instskip(NEXT) | instid1(VALU_DEP_2)
	v_add3_u32 v18, v18, v40, v41
	v_add3_u32 v33, v39, v42, v33
	s_delay_alu instid0(VALU_DEP_2) | instskip(NEXT) | instid1(VALU_DEP_2)
	v_add_nc_u32_e32 v36, v18, v36
	v_alignbit_b32 v39, v33, v33, 2
	v_alignbit_b32 v40, v33, v33, 13
	;; [unrolled: 1-line block ×3, first 2 shown]
	v_xor_b32_e32 v42, v32, v33
	v_alignbit_b32 v43, v36, v36, 6
	v_alignbit_b32 v44, v36, v36, 11
	;; [unrolled: 1-line block ×3, first 2 shown]
	v_xor3_b32 v39, v40, v39, v41
	v_bfi_b32 v40, v42, v38, v33
	v_bitop3_b32 v41, v36, v37, v35 bitop3:0xac
	s_wait_kmcnt 0x0
	v_add3_u32 v37, 0x90befffa, s4, v37
	v_xor3_b32 v42, v44, v43, v45
	v_add3_u32 v18, v39, v40, v18
	s_delay_alu instid0(VALU_DEP_2) | instskip(NEXT) | instid1(VALU_DEP_2)
	v_add3_u32 v34, v34, v41, v42
	v_alignbit_b32 v39, v18, v18, 2
	v_alignbit_b32 v40, v18, v18, 13
	;; [unrolled: 1-line block ×3, first 2 shown]
	s_delay_alu instid0(VALU_DEP_4) | instskip(SKIP_1) | instid1(VALU_DEP_3)
	v_add_nc_u32_e32 v38, v34, v38
	v_xor_b32_e32 v42, v33, v18
	v_xor3_b32 v39, v40, v39, v41
	s_delay_alu instid0(VALU_DEP_3)
	v_alignbit_b32 v40, v38, v38, 6
	v_alignbit_b32 v41, v38, v38, 11
	;; [unrolled: 1-line block ×3, first 2 shown]
	v_bfi_b32 v42, v42, v32, v18
	v_bitop3_b32 v44, v38, v35, v36 bitop3:0xac
	v_add3_u32 v35, 0xa4506ceb, s5, v35
	s_delay_alu instid0(VALU_DEP_4) | instskip(NEXT) | instid1(VALU_DEP_4)
	v_xor3_b32 v40, v41, v40, v43
	v_add3_u32 v34, v39, v42, v34
	s_delay_alu instid0(VALU_DEP_2) | instskip(NEXT) | instid1(VALU_DEP_2)
	v_add3_u32 v37, v37, v44, v40
	v_alignbit_b32 v39, v34, v34, 2
	v_alignbit_b32 v40, v34, v34, 13
	;; [unrolled: 1-line block ×3, first 2 shown]
	s_delay_alu instid0(VALU_DEP_4) | instskip(NEXT) | instid1(VALU_DEP_2)
	v_dual_add_nc_u32 v32, v37, v32 :: v_dual_bitop2_b32 v42, v18, v34 bitop3:0x14
	v_xor3_b32 v39, v40, v39, v41
	s_delay_alu instid0(VALU_DEP_2) | instskip(SKIP_4) | instid1(VALU_DEP_2)
	v_alignbit_b32 v41, v32, v32, 6
	v_alignbit_b32 v43, v32, v32, 25
	v_add_nc_u32_e32 v12, v32, v12
	v_bfi_b32 v40, v42, v33, v34
	v_alignbit_b32 v42, v32, v32, 11
	v_add3_u32 v37, v39, v40, v37
	v_bitop3_b32 v39, v32, v36, v38 bitop3:0xac
	s_delay_alu instid0(VALU_DEP_3) | instskip(SKIP_1) | instid1(VALU_DEP_4)
	v_xor3_b32 v40, v42, v41, v43
	v_add3_u32 v36, 0xbef9a3f7, s6, v36
	v_alignbit_b32 v41, v37, v37, 2
	v_xor_b32_e32 v42, v34, v37
	s_delay_alu instid0(VALU_DEP_4) | instskip(SKIP_2) | instid1(VALU_DEP_3)
	v_add3_u32 v35, v35, v39, v40
	v_alignbit_b32 v39, v37, v37, 13
	v_alignbit_b32 v40, v37, v37, 22
	v_add_nc_u32_e32 v33, v35, v33
	s_delay_alu instid0(VALU_DEP_2) | instskip(SKIP_1) | instid1(VALU_DEP_3)
	v_xor3_b32 v39, v39, v41, v40
	v_bfi_b32 v40, v42, v18, v37
	v_alignbit_b32 v41, v33, v33, 6
	v_alignbit_b32 v42, v33, v33, 11
	;; [unrolled: 1-line block ×3, first 2 shown]
	s_delay_alu instid0(VALU_DEP_4)
	v_add3_u32 v35, v39, v40, v35
	v_bitop3_b32 v39, v33, v38, v32 bitop3:0xac
	v_add3_u32 v38, 0xc67178f2, s7, v38
	v_add_nc_u32_e32 v14, v33, v14
	v_xor3_b32 v40, v42, v41, v43
	v_alignbit_b32 v41, v35, v35, 2
	v_alignbit_b32 v42, v35, v35, 13
	;; [unrolled: 1-line block ×3, first 2 shown]
	v_xor_b32_e32 v44, v37, v35
	v_add3_u32 v36, v36, v39, v40
	s_delay_alu instid0(VALU_DEP_3) | instskip(NEXT) | instid1(VALU_DEP_3)
	v_xor3_b32 v39, v42, v41, v43
	v_bfi_b32 v40, v44, v34, v35
	s_delay_alu instid0(VALU_DEP_3) | instskip(NEXT) | instid1(VALU_DEP_2)
	v_add_nc_u32_e32 v41, v36, v18
	v_add3_u32 v36, v39, v40, v36
	s_delay_alu instid0(VALU_DEP_2)
	v_alignbit_b32 v18, v41, v41, 6
	v_alignbit_b32 v39, v41, v41, 11
	;; [unrolled: 1-line block ×3, first 2 shown]
	v_bitop3_b32 v42, v41, v32, v33 bitop3:0xac
	v_xor_b32_e32 v43, v35, v36
	v_alignbit_b32 v44, v36, v36, 2
	v_alignbit_b32 v45, v36, v36, 13
	;; [unrolled: 1-line block ×3, first 2 shown]
	v_xor3_b32 v39, v39, v18, v40
	v_bfi_b32 v40, v43, v37, v36
	v_dual_add_nc_u32 v18, v37, v16 :: v_dual_add_nc_u32 v16, v36, v31
	v_add_nc_u32_e32 v13, v41, v13
	v_xor3_b32 v32, v45, v44, v46
	v_add3_u32 v37, v38, v42, v39
	v_dual_add_nc_u32 v38, v40, v19 :: v_dual_add_nc_u32 v19, v35, v17
	s_delay_alu instid0(VALU_DEP_2) | instskip(NEXT) | instid1(VALU_DEP_2)
	v_add3_u32 v15, v34, v15, v37
	v_add3_u32 v17, v38, v32, v37
	s_cbranch_scc1 .LBB0_4
; %bb.5:
	v_mov_b32_e32 v11, 0
	s_get_pc_i64 s[16:17]
	s_add_nc_u64 s[16:17], s[16:17], TS3@rel64+4
	s_get_pc_i64 s[14:15]
	s_add_nc_u64 s[14:15], s[14:15], TS0@rel64+4
	s_get_pc_i64 s[12:13]
	s_add_nc_u64 s[12:13], s[12:13], TS1@rel64+4
	s_get_pc_i64 s[2:3]
	s_add_nc_u64 s[2:3], s[2:3], TS2@rel64+4
	s_clause 0x1
	global_load_b128 v[4:7], v11, s[24:25]
	global_load_b128 v[0:3], v11, s[24:25] offset:16
	s_load_b128 s[4:7], s[26:27], 0x0
	s_load_b128 s[8:11], s[30:31], 0x0
	s_wait_kmcnt 0x0
	v_perm_b32 v8, 0, s4, 0x10203
	v_perm_b32 v23, 0, s6, 0x10203
	;; [unrolled: 1-line block ×5, first 2 shown]
	v_xor_b32_e32 v28, v8, v17
	v_xor_b32_e32 v30, v23, v19
	v_bitop3_b32 v26, v8, 0xff, v17 bitop3:0x48
	v_perm_b32 v24, 0, s8, 0x10203
	s_add_co_i32 s5, s7, 0x2000000
	v_lshrrev_b32_e32 v8, 22, v28
	v_dual_lshrrev_b32 v21, 6, v30 :: v_dual_bitop2_b32 v29, v22, v16 bitop3:0x14
	v_xor_b32_e32 v31, v9, v18
	v_bitop3_b32 v9, v9, 0xff, v18 bitop3:0x48
	v_xor_b32_e32 v35, v25, v16
	v_dual_lshrrev_b32 v27, 14, v30 :: v_dual_bitop2_b32 v34, v24, v17 bitop3:0x14
	v_and_b32_e32 v36, 0x3fc, v8
	global_load_b32 v20, v9, s[16:17] scale_offset
	s_wait_xcnt 0x0
	v_dual_lshrrev_b32 v9, 22, v29 :: v_dual_lshrrev_b32 v10, 14, v29
	v_dual_lshrrev_b32 v32, 6, v31 :: v_dual_lshrrev_b32 v33, 22, v34
	v_and_b32_e32 v21, 0x3fc, v21
	s_delay_alu instid0(VALU_DEP_3)
	v_and_b32_e32 v8, 0x3fc, v9
	v_and_b32_e32 v9, 0x3fc, v27
	global_load_b32 v52, v8, s[14:15]
	global_load_b32 v53, v9, s[12:13]
	v_and_b32_e32 v27, 0x3fc, v10
	v_and_b32_e32 v32, 0x3fc, v32
	v_lshrrev_b32_e32 v37, 14, v35
	global_load_b32 v54, v36, s[14:15]
	global_load_b32 v55, v27, s[12:13]
	s_clause 0x1
	global_load_b32 v56, v21, s[2:3]
	global_load_b32 v57, v32, s[2:3]
	global_load_b96 v[8:10], v11, s[24:25] offset:32
	s_wait_xcnt 0x3
	v_and_b32_e32 v27, 0x3fc, v33
	v_perm_b32 v33, 0, s5, 0x10203
	s_wait_xcnt 0x1
	v_and_b32_e32 v32, 0x3fc, v37
	global_load_b32 v21, v26, s[16:17] scale_offset
	global_load_b32 v58, v27, s[14:15]
	global_load_b32 v59, v32, s[12:13]
	s_wait_xcnt 0x1
	v_perm_b32 v27, 0, s11, 0x10203
	v_perm_b32 v26, 0, s10, 0x10203
	s_add_co_i32 s4, s7, 0x1000000
	v_bitop3_b32 v22, v22, 0xff, v16 bitop3:0x48
	s_wait_xcnt 0x0
	v_perm_b32 v32, 0, s4, 0x10203
	v_bitop3_b32 v38, v27, 0xff, v18 bitop3:0x48
	v_bitop3_b32 v24, v24, 0xff, v17 bitop3:0x48
	;; [unrolled: 1-line block ×3, first 2 shown]
	v_dual_lshrrev_b32 v30, 22, v30 :: v_dual_bitop2_b32 v36, v26, v19 bitop3:0x14
	v_dual_lshrrev_b32 v41, 14, v31 :: v_dual_bitop2_b32 v37, v27, v18 bitop3:0x14
	v_bitop3_b32 v60, v23, 0xff, v19 bitop3:0x48
	v_bitop3_b32 v61, v26, 0xff, v19 bitop3:0x48
	v_xor_b32_e32 v26, v32, v18
	v_bitop3_b32 v39, v32, 0xff, v18 bitop3:0x48
	v_dual_lshrrev_b32 v42, 6, v28 :: v_dual_bitop2_b32 v27, v33, v18 bitop3:0x14
	s_clause 0x1
	global_load_b32 v23, v22, s[16:17] scale_offset
	global_load_b32 v32, v38, s[16:17] scale_offset
	v_dual_lshrrev_b32 v47, 6, v34 :: v_dual_lshrrev_b32 v44, 14, v34
	s_clause 0x1
	global_load_b32 v34, v40, s[16:17] scale_offset
	global_load_b32 v33, v24, s[16:17] scale_offset
	s_wait_xcnt 0x2
	v_dual_lshrrev_b32 v38, 22, v35 :: v_dual_lshrrev_b32 v43, 14, v36
	s_wait_xcnt 0x0
	v_dual_lshrrev_b32 v46, 6, v37 :: v_dual_lshrrev_b32 v24, 22, v36
	v_dual_lshrrev_b32 v22, 22, v31 :: v_dual_lshrrev_b32 v28, 14, v28
	v_dual_lshrrev_b32 v29, 6, v29 :: v_dual_lshrrev_b32 v31, 6, v36
	v_dual_lshrrev_b32 v36, 14, v37 :: v_dual_lshrrev_b32 v37, 22, v37
	v_and_b32_e32 v40, 0x3fc, v43
	v_lshrrev_b32_e32 v49, 6, v35
	global_load_b32 v35, v39, s[16:17] scale_offset
	s_wait_xcnt 0x0
	v_lshrrev_b32_e32 v39, 14, v26
	v_and_b32_e32 v24, 0x3fc, v24
	v_and_b32_e32 v36, 0x3fc, v36
	;; [unrolled: 1-line block ×3, first 2 shown]
	v_bitop3_b32 v25, v25, 0xff, v16 bitop3:0x48
	v_and_b32_e32 v22, 0x3fc, v22
	v_and_b32_e32 v28, 0x3fc, v28
	;; [unrolled: 1-line block ×3, first 2 shown]
	s_wait_loadcnt 0x11
	v_perm_b32 v69, 0, v4, 0x10203
	s_wait_loadcnt 0x10
	v_perm_b32 v4, 0, v1, 0x10203
	v_and_b32_e32 v1, 0x3fc, v30
	v_and_b32_e32 v30, 0x3fc, v38
	v_perm_b32 v70, 0, v5, 0x10203
	v_perm_b32 v5, 0, v0, 0x10203
	v_lshrrev_b32_e32 v0, 14, v27
	v_perm_b32 v72, 0, v6, 0x10203
	v_perm_b32 v6, 0, v2, 0x10203
	v_and_b32_e32 v2, 0x3fc, v41
	v_and_b32_e32 v41, 0x3fc, v44
	global_load_b32 v62, v30, s[14:15]
	global_load_b32 v63, v40, s[12:13]
	;; [unrolled: 1-line block ×6, first 2 shown]
	s_wait_xcnt 0x5
	v_and_b32_e32 v30, 0x3fc, v31
	v_perm_b32 v71, 0, v7, 0x10203
	v_and_b32_e32 v7, 0x3fc, v42
	v_and_b32_e32 v31, 0x3fc, v46
	s_wait_xcnt 0x3
	v_and_b32_e32 v24, 0x3fc, v39
	v_and_b32_e32 v0, 0x3fc, v0
	global_load_b32 v36, v1, s[14:15]
	global_load_b32 v39, v2, s[12:13]
	global_load_b32 v40, v22, s[14:15]
	global_load_b32 v37, v7, s[2:3]
	s_clause 0x2
	global_load_b32 v41, v24, s[12:13]
	global_load_b32 v42, v0, s[12:13]
	; meta instruction
	; meta instruction
	;; [unrolled: 1-line block ×6, first 2 shown]
	global_load_b32 v22, v28, s[12:13]
	global_load_b32 v24, v29, s[2:3]
	s_wait_xcnt 0x2
	v_and_b32_e32 v0, 0x3fc, v47
	v_and_b32_e32 v1, 0x3fc, v49
	global_load_b32 v48, v30, s[2:3]
	global_load_b32 v46, v25, s[16:17] scale_offset
	global_load_b32 v49, v31, s[2:3]
	global_load_b32 v47, v61, s[16:17] scale_offset
	s_clause 0x1
	global_load_b32 v50, v0, s[2:3]
	global_load_b32 v51, v1, s[2:3]
	global_load_b32 v7, v60, s[16:17] scale_offset
	s_wait_xcnt 0x1
	v_dual_lshrrev_b32 v0, 22, v26 :: v_dual_lshrrev_b32 v1, 22, v27
	v_perm_b32 v3, 0, v3, 0x10203
	v_dual_lshrrev_b32 v27, 6, v27 :: v_dual_lshrrev_b32 v26, 6, v26
	s_delay_alu instid0(VALU_DEP_3) | instskip(NEXT) | instid1(VALU_DEP_2)
	v_and_b32_e32 v1, 0x3fc, v1
	v_and_b32_e32 v27, 0x3fc, v27
	s_delay_alu instid0(VALU_DEP_3)
	v_and_b32_e32 v26, 0x3fc, v26
	s_wait_loadcnt 0x22
	v_xor_b32_e32 v28, v53, v52
	v_and_b32_e32 v0, 0x3fc, v0
	v_xor_b32_e32 v52, v15, v20
	s_wait_loadcnt 0x1f
	v_xor3_b32 v25, v55, v54, v56
	s_clause 0x1
	global_load_b32 v31, v0, s[14:15]
	global_load_b32 v30, v1, s[14:15]
	s_wait_loadcnt 0x20
	v_xor3_b32 v20, v13, v57, v28
	s_wait_loadcnt 0x1f
	v_perm_b32 v2, 0, v8, 0x10203
	s_wait_xcnt 0x0
	v_perm_b32 v1, 0, v9, 0x10203
	v_perm_b32 v0, 0, v10, 0x10203
	s_wait_loadcnt 0x1c
	v_xor_b32_e32 v53, v58, v59
	v_xor_b32_e32 v8, v20, v21
	;; [unrolled: 1-line block ×3, first 2 shown]
	v_bitop3_b32 v20, v20, 0xff, v21 bitop3:0x48
	s_delay_alu instid0(VALU_DEP_2) | instskip(SKIP_1) | instid1(VALU_DEP_2)
	v_dual_lshrrev_b32 v29, 14, v8 :: v_dual_lshrrev_b32 v10, 22, v9
	v_bitop3_b32 v52, v52, 0xff, v25 bitop3:0x48
	v_and_b32_e32 v55, 0x3fc, v29
	s_delay_alu instid0(VALU_DEP_3) | instskip(SKIP_4) | instid1(VALU_DEP_1)
	v_and_b32_e32 v54, 0x3fc, v10
	global_load_b32 v10, v54, s[14:15]
	global_load_b32 v29, v55, s[12:13]
	s_wait_xcnt 0x0
	v_lshrrev_b32_e32 v55, 22, v12
	v_and_b32_e32 v55, 0x3fc, v55
	s_wait_loadcnt 0x11
	v_xor_b32_e32 v39, v14, v39
	v_xor_b32_e32 v54, v62, v63
	v_dual_lshrrev_b32 v45, 14, v12 :: v_dual_bitop2_b32 v44, v44, v45 bitop3:0x14
	s_wait_loadcnt 0xf
	s_delay_alu instid0(VALU_DEP_3)
	v_xor3_b32 v59, v39, v36, v37
	s_wait_loadcnt 0xd
	v_xor_b32_e32 v58, v14, v42
	v_and_b32_e32 v45, 0x3fc, v45
	s_wait_loadcnt 0xa
	v_xor3_b32 v39, v53, v48, v32
	v_xor_b32_e32 v48, v59, v23
	s_wait_loadcnt 0x3
	v_xor_b32_e32 v31, v12, v31
	s_wait_loadcnt 0x2
	;; [unrolled: 2-line block ×3, first 2 shown]
	v_dual_lshrrev_b32 v29, 6, v9 :: v_dual_bitop2_b32 v10, v29, v10 bitop3:0x14
	v_dual_lshrrev_b32 v9, 14, v9 :: v_dual_bitop2_b32 v43, v38, v43 bitop3:0x14
	;; [unrolled: 1-line block ×3, first 2 shown]
	v_xor_b32_e32 v57, v14, v41
	s_delay_alu instid0(VALU_DEP_4) | instskip(NEXT) | instid1(VALU_DEP_4)
	v_and_b32_e32 v29, 0x3fc, v29
	v_xor3_b32 v42, v43, v51, v47
	s_delay_alu instid0(VALU_DEP_4)
	v_and_b32_e32 v56, 0x3fc, v38
	v_dual_lshrrev_b32 v47, 6, v48 :: v_dual_bitop2_b32 v38, v15, v34 bitop3:0x14
	v_xor_b32_e32 v34, v35, v25
	v_xor_b32_e32 v40, v12, v40
	v_lshrrev_b32_e32 v43, 22, v8
	v_xor3_b32 v41, v44, v50, v46
	v_lshrrev_b32_e32 v44, 14, v48
	v_and_b32_e32 v47, 0x3fc, v47
	v_xor3_b32 v60, v40, v22, v24
	v_xor3_b32 v40, v54, v49, v33
	v_and_b32_e32 v43, 0x3fc, v43
	v_lshrrev_b32_e32 v8, 6, v8
	v_and_b32_e32 v44, 0x3fc, v44
	v_xor_b32_e32 v46, v60, v7
	v_bitop3_b32 v49, v60, 0xff, v7 bitop3:0x48
	global_load_b32 v51, v49, s[16:17] scale_offset
	global_load_b32 v53, v43, s[14:15]
	global_load_b32 v54, v44, s[12:13]
	v_lshrrev_b32_e32 v50, 6, v46
	global_load_b32 v47, v47, s[2:3]
	v_xor3_b32 v33, v57, v36, v37
	v_xor3_b32 v36, v58, v36, v37
	v_lshrrev_b32_e32 v37, 22, v34
	s_wait_xcnt 0x2
	v_and_b32_e32 v43, 0x3fc, v50
	global_load_b32 v49, v52, s[16:17] scale_offset
	s_clause 0x1
	global_load_b32 v50, v43, s[2:3]
	global_load_b32 v52, v55, s[2:3]
	;; [unrolled: 1-line block ×3, first 2 shown]
	v_and_b32_e32 v37, 0x3fc, v37
	s_clause 0x1
	global_load_b32 v55, v56, s[14:15]
	global_load_b32 v44, v37, s[14:15]
	s_wait_xcnt 0x0
	v_xor3_b32 v37, v31, v22, v24
	v_xor3_b32 v31, v30, v22, v24
	v_and_b32_e32 v22, 0xff, v12
	v_dual_lshrrev_b32 v24, 22, v48 :: v_dual_bitop2_b32 v32, v38, v25 bitop3:0x14
	v_lshrrev_b32_e32 v30, 14, v46
	v_and_b32_e32 v9, 0x3fc, v9
	global_load_b32 v22, v22, s[12:13] scale_offset
	v_lshrrev_b32_e32 v43, 22, v32
	v_and_b32_e32 v24, 0x3fc, v24
	v_and_b32_e32 v30, 0x3fc, v30
	;; [unrolled: 1-line block ×3, first 2 shown]
	v_bitop3_b32 v35, v35, 0xff, v25 bitop3:0x48
	v_and_b32_e32 v43, 0x3fc, v43
	v_bitop3_b32 v25, v38, 0xff, v25 bitop3:0x48
	s_clause 0x1
	global_load_b32 v43, v43, s[14:15]
	global_load_b32 v48, v24, s[14:15]
	;; [unrolled: 1-line block ×3, first 2 shown]
	global_load_b32 v20, v20, s[16:17] scale_offset
	global_load_b32 v30, v29, s[2:3]
	v_lshrrev_b32_e32 v24, 22, v46
	s_delay_alu instid0(VALU_DEP_1)
	v_and_b32_e32 v24, 0x3fc, v24
	global_load_b32 v46, v9, s[12:13]
	global_load_b32 v57, v24, s[14:15]
	s_wait_xcnt 0x1
	v_bitop3_b32 v9, v59, 0xff, v23 bitop3:0x48
	global_load_b32 v58, v9, s[16:17] scale_offset
	global_load_b32 v59, v8, s[2:3]
	s_wait_loadcnt 0x11
	s_wait_xcnt 0x0
	v_xor_b32_e32 v8, v53, v54
	v_xor_b32_e32 v53, v39, v15
	s_wait_loadcnt 0x10
	v_xor3_b32 v29, v10, v47, v51
	v_xor_b32_e32 v47, v40, v13
	v_xor_b32_e32 v51, v41, v14
	v_bitop3_b32 v40, v40, 0xff, v13 bitop3:0x48
	v_bitop3_b32 v41, v41, 0xff, v14 bitop3:0x48
	s_delay_alu instid0(VALU_DEP_4)
	v_lshrrev_b32_e32 v10, 14, v47
	s_wait_loadcnt 0xe
	v_xor3_b32 v9, v8, v50, v49
	v_lshrrev_b32_e32 v8, 22, v53
	s_wait_loadcnt 0xc
	v_perm_b32 v24, v45, v52, 0x70c0c00
	v_lshrrev_b32_e32 v45, 6, v51
	v_and_b32_e32 v10, 0x3fc, v10
	v_bitop3_b32 v49, v42, 0xff, v12 bitop3:0x48
	v_and_b32_e32 v8, 0x3fc, v8
	s_wait_loadcnt 0xb
	v_and_or_b32 v24, 0xff0000, v55, v24
	v_and_b32_e32 v45, 0x3fc, v45
	global_load_b32 v50, v8, s[14:15]
	global_load_b32 v52, v10, s[12:13]
	global_load_b32 v54, v49, s[16:17] scale_offset
	global_load_b32 v55, v45, s[2:3]
	s_wait_loadcnt 0xd
	s_wait_xcnt 0x3
	v_and_b32_e32 v8, 0xff00, v22
	s_delay_alu instid0(VALU_DEP_1) | instskip(NEXT) | instid1(VALU_DEP_1)
	v_bitop3_b32 v8, v24, v17, v8 bitop3:0x36
	v_xor_b32_e32 v22, 0x1000000, v8
	s_wait_loadcnt 0xa
	v_dual_lshrrev_b32 v48, 22, v47 :: v_dual_bitop2_b32 v24, v48, v56 bitop3:0x14
	s_wait_xcnt 0x1
	s_delay_alu instid0(VALU_DEP_2) | instskip(SKIP_3) | instid1(VALU_DEP_3)
	v_dual_lshrrev_b32 v49, 14, v51 :: v_dual_bitop2_b32 v10, v22, v16 bitop3:0x14
	v_lshrrev_b32_e32 v47, 6, v47
	s_wait_loadcnt 0x8
	v_xor3_b32 v30, v24, v30, v20
	v_xor_b32_e32 v20, v10, v19
	s_wait_loadcnt 0x6
	s_wait_xcnt 0x0
	v_xor_b32_e32 v45, v57, v46
	s_delay_alu instid0(VALU_DEP_2) | instskip(NEXT) | instid1(VALU_DEP_1)
	v_xor_b32_e32 v24, v20, v18
	v_lshrrev_b32_e32 v46, 22, v24
	s_delay_alu instid0(VALU_DEP_1)
	v_and_b32_e32 v46, 0x3fc, v46
	global_load_b32 v46, v46, s[16:17]
	s_clause 0x1
	global_load_b32 v56, v26, s[2:3]
	global_load_b32 v57, v27, s[2:3]
	s_wait_xcnt 0x1
	v_and_b32_e32 v26, 0x3fc, v48
	s_wait_xcnt 0x0
	v_and_b32_e32 v27, 0x3fc, v49
	global_load_b32 v48, v26, s[14:15]
	global_load_b32 v49, v27, s[12:13]
	s_wait_xcnt 0x1
	v_xor_b32_e32 v26, v42, v12
	s_wait_xcnt 0x0
	v_bitop3_b32 v27, v39, 0xff, v15 bitop3:0x48
	global_load_b32 v27, v27, s[16:17] scale_offset
	s_wait_loadcnt 0x8
	v_dual_lshrrev_b32 v50, 22, v51 :: v_dual_bitop2_b32 v39, v50, v52 bitop3:0x14
	v_dual_lshrrev_b32 v52, 6, v53 :: v_dual_lshrrev_b32 v53, 14, v53
	v_dual_lshrrev_b32 v51, 14, v26 :: v_dual_lshrrev_b32 v42, 6, v26
	v_lshrrev_b32_e32 v26, 22, v26
	s_delay_alu instid0(VALU_DEP_4)
	v_and_b32_e32 v50, 0x3fc, v50
	s_wait_loadcnt 0x6
	v_xor3_b32 v39, v39, v55, v54
	v_and_b32_e32 v51, 0x3fc, v51
	v_and_b32_e32 v42, 0x3fc, v42
	;; [unrolled: 1-line block ×3, first 2 shown]
	global_load_b32 v54, v50, s[14:15]
	global_load_b32 v55, v51, s[12:13]
	s_wait_xcnt 0x1
	v_and_b32_e32 v50, 0x3fc, v53
	v_xor3_b32 v45, v45, v59, v58
	s_wait_xcnt 0x0
	v_and_b32_e32 v51, 0x3fc, v52
	global_load_b32 v52, v42, s[2:3]
	global_load_b32 v53, v40, s[16:17] scale_offset
	global_load_b32 v58, v26, s[14:15]
	global_load_b32 v59, v50, s[12:13]
	s_wait_xcnt 0x1
	v_and_b32_e32 v26, 0x3fc, v47
	global_load_b32 v40, v51, s[2:3]
	global_load_b32 v42, v41, s[16:17] scale_offset
	global_load_b32 v47, v26, s[2:3]
	v_lshrrev_b32_e32 v38, 6, v24
	s_delay_alu instid0(VALU_DEP_1)
	v_and_b32_e32 v38, 0x3fc, v38
	s_wait_loadcnt 0xd
	s_wait_xcnt 0x0
	v_xor3_b32 v26, v13, v56, v28
	s_wait_loadcnt 0xc
	v_xor3_b32 v41, v13, v57, v28
	s_delay_alu instid0(VALU_DEP_2) | instskip(SKIP_2) | instid1(VALU_DEP_2)
	v_xor_b32_e32 v50, v26, v21
	v_bitop3_b32 v26, v26, 0xff, v21 bitop3:0x48
	s_wait_loadcnt 0xa
	v_dual_lshrrev_b32 v48, 14, v50 :: v_dual_bitop2_b32 v28, v48, v49 bitop3:0x14
	s_delay_alu instid0(VALU_DEP_1)
	v_and_b32_e32 v48, 0x3fc, v48
	global_load_b32 v48, v48, s[12:13]
	s_wait_loadcnt 0x8
	v_xor_b32_e32 v49, v54, v55
	s_wait_loadcnt 0x7
	v_xor3_b32 v52, v28, v52, v27
	v_xor_b32_e32 v54, v41, v21
	v_xor_b32_e32 v51, v33, v23
	s_wait_loadcnt 0x4
	v_xor_b32_e32 v28, v58, v59
	v_xor_b32_e32 v55, v36, v23
	v_bitop3_b32 v21, v41, 0xff, v21 bitop3:0x48
	v_bitop3_b32 v33, v33, 0xff, v23 bitop3:0x48
	;; [unrolled: 1-line block ×3, first 2 shown]
	s_wait_loadcnt 0x1
	v_xor3_b32 v42, v28, v47, v42
	v_lshrrev_b32_e32 v28, 6, v55
	v_xor3_b32 v40, v49, v40, v53
	v_dual_lshrrev_b32 v49, 14, v54 :: v_dual_lshrrev_b32 v27, 6, v51
	v_bitop3_b32 v53, v37, 0xff, v7 bitop3:0x48
	v_xor_b32_e32 v37, v37, v7
	s_delay_alu instid0(VALU_DEP_3) | instskip(NEXT) | instid1(VALU_DEP_4)
	v_and_b32_e32 v47, 0x3fc, v49
	v_and_b32_e32 v27, 0x3fc, v27
	global_load_b32 v49, v27, s[2:3]
	global_load_b32 v56, v53, s[16:17] scale_offset
	s_wait_xcnt 0x1
	v_and_b32_e32 v27, 0x3fc, v28
	global_load_b32 v47, v47, s[12:13]
	v_bitop3_b32 v28, v31, 0xff, v7 bitop3:0x48
	global_load_b32 v53, v27, s[2:3]
	global_load_b32 v57, v28, s[16:17] scale_offset
	s_wait_xcnt 0x0
	v_dual_lshrrev_b32 v28, 14, v24 :: v_dual_bitop2_b32 v7, v31, v7 bitop3:0x14
	s_delay_alu instid0(VALU_DEP_1) | instskip(NEXT) | instid1(VALU_DEP_2)
	v_and_b32_e32 v28, 0x3fc, v28
	v_dual_lshrrev_b32 v41, 6, v7 :: v_dual_lshrrev_b32 v31, 6, v37
	s_delay_alu instid0(VALU_DEP_1) | instskip(NEXT) | instid1(VALU_DEP_2)
	v_and_b32_e32 v36, 0x3fc, v41
	v_and_b32_e32 v31, 0x3fc, v31
	s_wait_loadcnt 0x5
	v_dual_lshrrev_b32 v48, 14, v51 :: v_dual_bitop2_b32 v27, v44, v48 bitop3:0x14
	global_load_b32 v44, v28, s[14:15]
	v_and_b32_e32 v48, 0x3fc, v48
	s_wait_loadcnt 0x4
	s_wait_xcnt 0x0
	v_xor3_b32 v28, v27, v49, v56
	s_wait_loadcnt 0x3
	v_dual_lshrrev_b32 v27, 22, v50 :: v_dual_bitop2_b32 v43, v43, v47 bitop3:0x14
	v_dual_lshrrev_b32 v49, 22, v54 :: v_dual_lshrrev_b32 v54, 6, v54
	v_lshrrev_b32_e32 v50, 6, v50
	s_delay_alu instid0(VALU_DEP_3)
	v_and_b32_e32 v47, 0x3fc, v27
	s_wait_loadcnt 0x1
	v_xor3_b32 v27, v43, v53, v57
	v_lshrrev_b32_e32 v43, 14, v55
	global_load_b32 v53, v47, s[14:15]
	global_load_b32 v56, v48, s[12:13]
	s_wait_xcnt 0x1
	v_and_b32_e32 v47, 0x3fc, v49
	v_and_b32_e32 v43, 0x3fc, v43
	global_load_b32 v48, v47, s[14:15]
	global_load_b32 v49, v43, s[12:13]
	s_wait_xcnt 0x0
	v_bitop3_b32 v43, v20, 0xff, v18 bitop3:0x48
	global_load_b32 v35, v35, s[16:17] scale_offset
	v_and_b32_e32 v50, 0x3fc, v50
	s_clause 0x1
	global_load_b32 v43, v43, s[2:3] scale_offset
	global_load_b32 v41, v31, s[2:3]
	global_load_b32 v47, v38, s[12:13]
	s_wait_xcnt 0x0
	v_dual_lshrrev_b32 v31, 22, v51 :: v_dual_lshrrev_b32 v38, 14, v37
	global_load_b32 v51, v25, s[16:17] scale_offset
	global_load_b32 v57, v36, s[2:3]
	s_wait_xcnt 0x1
	v_and_b32_e32 v25, 0x3fc, v31
	v_and_b32_e32 v31, 0x3fc, v38
	global_load_b32 v36, v25, s[14:15]
	global_load_b32 v38, v31, s[12:13]
	s_wait_xcnt 0x0
	v_dual_lshrrev_b32 v31, 6, v34 :: v_dual_lshrrev_b32 v34, 14, v34
	s_wait_loadcnt 0xc
	v_perm_b32 v25, v46, v44, 0x7020c0c
	global_load_b32 v44, v26, s[16:17] scale_offset
	s_wait_xcnt 0x0
	v_lshrrev_b32_e32 v26, 22, v37
	v_and_b32_e32 v31, 0x3fc, v31
	v_and_b32_e32 v34, 0x3fc, v34
	s_delay_alu instid0(VALU_DEP_3)
	v_and_b32_e32 v26, 0x3fc, v26
	global_load_b32 v31, v31, s[2:3]
	global_load_b32 v37, v34, s[12:13]
	;; [unrolled: 1-line block ×3, first 2 shown]
	s_wait_xcnt 0x1
	v_dual_lshrrev_b32 v34, 6, v32 :: v_dual_lshrrev_b32 v32, 14, v32
	s_clause 0x1
	global_load_b32 v21, v21, s[16:17] scale_offset
	global_load_b32 v33, v33, s[16:17] scale_offset
	v_and_b32_e32 v34, 0x3fc, v34
	s_wait_loadcnt 0x10
	s_wait_xcnt 0x2
	v_dual_lshrrev_b32 v53, 22, v55 :: v_dual_bitop2_b32 v26, v53, v56 bitop3:0x14
	v_and_b32_e32 v32, 0x3fc, v32
	s_wait_loadcnt 0xe
	v_dual_lshrrev_b32 v49, 14, v7 :: v_dual_bitop2_b32 v48, v48, v49 bitop3:0x14
	s_delay_alu instid0(VALU_DEP_3) | instskip(SKIP_1) | instid1(VALU_DEP_3)
	v_and_b32_e32 v53, 0x3fc, v53
	v_lshrrev_b32_e32 v7, 22, v7
	v_and_b32_e32 v49, 0x3fc, v49
	global_load_b32 v55, v23, s[16:17] scale_offset
	global_load_b32 v56, v53, s[14:15]
	global_load_b32 v58, v49, s[12:13]
	s_clause 0x1
	global_load_b32 v23, v50, s[2:3]
	global_load_b32 v49, v34, s[2:3]
	;; [unrolled: 1-line block ×3, first 2 shown]
	s_wait_loadcnt 0x12
	s_wait_xcnt 0x1
	v_and_b32_e32 v34, 0xff, v43
	s_wait_loadcnt 0x11
	v_xor3_b32 v35, v26, v41, v35
	v_xor_b32_e32 v43, v9, v10
	v_xor_b32_e32 v41, v29, v22
	v_and_b32_e32 v7, 0x3fc, v7
	s_wait_loadcnt 0x10
	v_and_or_b32 v25, 0xff00, v47, v25
	s_wait_loadcnt 0xe
	v_xor3_b32 v48, v48, v57, v51
	v_dual_lshrrev_b32 v51, 14, v43 :: v_dual_lshrrev_b32 v50, 22, v41
	v_xor_b32_e32 v47, v30, v20
	s_wait_xcnt 0x0
	v_and_b32_e32 v32, 0x3fc, v54
	global_load_b32 v7, v7, s[14:15]
	v_bitop3_b32 v26, v25, v15, v34 bitop3:0x36
	v_and_b32_e32 v34, 0x3fc, v50
	s_wait_loadcnt 0xd
	v_dual_lshrrev_b32 v25, 6, v47 :: v_dual_bitop2_b32 v36, v36, v38 bitop3:0x14
	global_load_b32 v32, v32, s[2:3]
	v_and_b32_e32 v50, 0x3fc, v51
	v_bitop3_b32 v38, v45, 0xff, v24 bitop3:0x48
	v_and_b32_e32 v25, 0x3fc, v25
	global_load_b32 v51, v34, s[14:15]
	global_load_b32 v54, v50, s[12:13]
	global_load_b32 v57, v38, s[16:17] scale_offset
	global_load_b32 v59, v25, s[2:3]
	s_wait_loadcnt 0x10
	s_wait_xcnt 0x0
	v_xor3_b32 v25, v36, v31, v44
	v_lshrrev_b32_e32 v31, 22, v43
	v_dual_lshrrev_b32 v34, 14, v47 :: v_dual_bitop2_b32 v36, v45, v24 bitop3:0x14
	s_wait_loadcnt 0xe
	v_xor_b32_e32 v37, v46, v37
	v_bitop3_b32 v29, v29, 0xff, v22 bitop3:0x48
	v_and_b32_e32 v31, 0x3fc, v31
	v_and_b32_e32 v34, 0x3fc, v34
	v_lshrrev_b32_e32 v38, 6, v36
	global_load_b32 v44, v31, s[14:15]
	global_load_b32 v45, v34, s[12:13]
	v_bitop3_b32 v9, v9, 0xff, v10 bitop3:0x48
	s_wait_xcnt 0x1
	v_and_b32_e32 v31, 0x3fc, v38
	global_load_b32 v34, v29, s[16:17] scale_offset
	global_load_b32 v38, v31, s[2:3]
	s_wait_xcnt 0x1
	v_bitop3_b32 v29, v30, 0xff, v20 bitop3:0x48
	s_wait_xcnt 0x0
	v_xor_b32_e32 v31, v39, v22
	v_bitop3_b32 v46, v52, 0xff, v10 bitop3:0x48
	global_load_b32 v9, v9, s[16:17] scale_offset
	v_bitop3_b32 v39, v39, 0xff, v22 bitop3:0x48
	global_load_b32 v29, v29, s[16:17] scale_offset
	v_dual_lshrrev_b32 v50, 6, v41 :: v_dual_lshrrev_b32 v41, 14, v41
	v_lshrrev_b32_e32 v47, 22, v47
	v_lshrrev_b32_e32 v43, 6, v43
	s_delay_alu instid0(VALU_DEP_3) | instskip(NEXT) | instid1(VALU_DEP_4)
	v_and_b32_e32 v50, 0x3fc, v50
	v_and_b32_e32 v41, 0x3fc, v41
	s_delay_alu instid0(VALU_DEP_4) | instskip(NEXT) | instid1(VALU_DEP_4)
	v_and_b32_e32 v47, 0x3fc, v47
	v_and_b32_e32 v43, 0x3fc, v43
	s_wait_loadcnt 0xe
	v_xor3_b32 v23, v37, v23, v33
	v_xor_b32_e32 v30, v56, v58
	v_xor_b32_e32 v33, v52, v10
	v_xor_b32_e32 v37, v40, v20
	s_wait_loadcnt 0xd
	s_delay_alu instid0(VALU_DEP_3) | instskip(SKIP_3) | instid1(VALU_DEP_3)
	v_xor3_b32 v30, v30, v49, v21
	v_dual_lshrrev_b32 v49, 14, v36 :: v_dual_lshrrev_b32 v36, 22, v36
	v_dual_lshrrev_b32 v52, 14, v33 :: v_dual_bitop2_b32 v21, v42, v24 bitop3:0x14
	v_bitop3_b32 v42, v42, 0xff, v24 bitop3:0x48
	v_and_b32_e32 v49, 0x3fc, v49
	s_delay_alu instid0(VALU_DEP_4) | instskip(SKIP_4) | instid1(VALU_DEP_2)
	v_and_b32_e32 v36, 0x3fc, v36
	s_wait_loadcnt 0xb
	v_xor_b32_e32 v7, v7, v53
	v_and_b32_e32 v52, 0x3fc, v52
	s_wait_loadcnt 0xa
	v_xor3_b32 v7, v7, v32, v55
	v_lshrrev_b32_e32 v32, 22, v31
	s_wait_loadcnt 0x8
	v_xor_b32_e32 v51, v54, v51
	global_load_b32 v53, v47, s[14:15]
	global_load_b32 v54, v49, s[12:13]
	s_wait_xcnt 0x1
	v_lshrrev_b32_e32 v47, 6, v37
	v_and_b32_e32 v32, 0x3fc, v32
	global_load_b32 v42, v42, s[16:17] scale_offset
	s_wait_loadcnt 0x9
	s_wait_xcnt 0x1
	v_xor3_b32 v49, v51, v59, v57
	v_lshrrev_b32_e32 v51, 22, v33
	global_load_b32 v50, v50, s[2:3]
	global_load_b32 v55, v36, s[14:15]
	;; [unrolled: 1-line block ×3, first 2 shown]
	s_wait_xcnt 0x1
	v_and_b32_e32 v36, 0x3fc, v47
	global_load_b32 v41, v32, s[14:15]
	global_load_b32 v47, v52, s[12:13]
	s_wait_xcnt 0x1
	v_dual_lshrrev_b32 v32, 14, v37 :: v_dual_lshrrev_b32 v37, 22, v37
	v_and_b32_e32 v51, 0x3fc, v51
	s_wait_loadcnt 0xc
	v_xor_b32_e32 v44, v44, v45
	v_lshrrev_b32_e32 v45, 6, v21
	v_and_b32_e32 v32, 0x3fc, v32
	s_clause 0x1
	global_load_b32 v43, v43, s[2:3]
	global_load_b32 v36, v36, s[2:3]
	global_load_b32 v39, v39, s[16:17] scale_offset
	global_load_b32 v52, v51, s[14:15]
	global_load_b32 v57, v32, s[12:13]
	s_wait_loadcnt 0xf
	s_wait_xcnt 0x0
	v_xor3_b32 v32, v44, v38, v34
	v_dual_lshrrev_b32 v34, 14, v21 :: v_dual_lshrrev_b32 v21, 22, v21
	v_dual_lshrrev_b32 v38, 6, v31 :: v_dual_lshrrev_b32 v31, 14, v31
	v_and_b32_e32 v45, 0x3fc, v45
	v_and_b32_e32 v37, 0x3fc, v37
	s_delay_alu instid0(VALU_DEP_4)
	v_and_b32_e32 v34, 0x3fc, v34
	v_and_b32_e32 v21, 0x3fc, v21
	v_lshrrev_b32_e32 v33, 6, v33
	v_and_b32_e32 v31, 0x3fc, v31
	global_load_b32 v44, v45, s[2:3]
	global_load_b32 v45, v37, s[14:15]
	;; [unrolled: 1-line block ×3, first 2 shown]
	s_wait_xcnt 0x0
	v_and_b32_e32 v34, 0x3fc, v38
	global_load_b32 v37, v21, s[14:15]
	global_load_b32 v38, v31, s[12:13]
	s_wait_xcnt 0x1
	v_bitop3_b32 v21, v40, 0xff, v20 bitop3:0x48
	v_and_b32_e32 v33, 0x3fc, v33
	global_load_b32 v31, v46, s[16:17] scale_offset
	global_load_b32 v40, v34, s[2:3]
	global_load_b32 v46, v21, s[16:17] scale_offset
	global_load_b32 v58, v33, s[2:3]
	s_wait_xcnt 0x0
	v_xor_b32_e32 v33, v26, v13
	s_wait_loadcnt 0x14
	v_xor_b32_e32 v21, v53, v54
	s_wait_loadcnt 0x12
	s_delay_alu instid0(VALU_DEP_1) | instskip(SKIP_3) | instid1(VALU_DEP_2)
	v_xor3_b32 v50, v21, v50, v9
	v_xor_b32_e32 v9, v33, v14
	s_wait_loadcnt 0xe
	v_xor_b32_e32 v41, v41, v47
	v_bitop3_b32 v53, v9, 0xff, v12 bitop3:0x48
	s_wait_loadcnt 0xc
	s_delay_alu instid0(VALU_DEP_2) | instskip(SKIP_4) | instid1(VALU_DEP_3)
	v_xor3_b32 v36, v41, v36, v42
	v_xor_b32_e32 v41, v28, v22
	v_xor_b32_e32 v34, v9, v12
	;; [unrolled: 1-line block ×3, first 2 shown]
	v_bitop3_b32 v28, v28, 0xff, v22 bitop3:0x48
	v_lshrrev_b32_e32 v47, 22, v34
	s_delay_alu instid0(VALU_DEP_3) | instskip(SKIP_1) | instid1(VALU_DEP_3)
	v_xor3_b32 v29, v21, v43, v29
	v_dual_lshrrev_b32 v21, 14, v34 :: v_dual_lshrrev_b32 v43, 6, v34
	v_and_b32_e32 v42, 0x3fc, v47
	global_load_b32 v47, v53, s[12:13] scale_offset
	v_and_b32_e32 v21, 0x3fc, v21
	s_wait_loadcnt 0x7
	v_xor_b32_e32 v45, v45, v51
	v_and_b32_e32 v43, 0x3fc, v43
	s_wait_loadcnt 0x5
	v_xor_b32_e32 v37, v37, v38
	v_bitop3_b32 v38, v23, 0xff, v24 bitop3:0x48
	v_xor_b32_e32 v23, v23, v24
	s_wait_loadcnt 0x3
	v_xor3_b32 v40, v45, v40, v31
	v_xor_b32_e32 v31, v27, v22
	v_xor_b32_e32 v52, v52, v57
	;; [unrolled: 1-line block ×3, first 2 shown]
	s_wait_loadcnt 0x1
	v_xor3_b32 v37, v37, v58, v46
	global_load_b32 v42, v42, s[2:3]
	global_load_b32 v54, v21, s[16:17]
	;; [unrolled: 1-line block ×3, first 2 shown]
	v_xor3_b32 v39, v52, v44, v39
	v_dual_lshrrev_b32 v46, 14, v45 :: v_dual_bitop2_b32 v44, v25, v20 bitop3:0x14
	s_wait_xcnt 0x3
	v_xor_b32_e32 v53, v35, v10
	v_bitop3_b32 v27, v27, 0xff, v22 bitop3:0x48
	v_bitop3_b32 v35, v35, 0xff, v10 bitop3:0x48
	v_lshrrev_b32_e32 v51, 6, v44
	v_and_b32_e32 v46, 0x3fc, v46
	s_wait_xcnt 0x0
	v_lshrrev_b32_e32 v43, 14, v53
	v_lshrrev_b32_e32 v21, 22, v41
	v_bitop3_b32 v25, v25, 0xff, v20 bitop3:0x48
	v_and_b32_e32 v51, 0x3fc, v51
	s_delay_alu instid0(VALU_DEP_4) | instskip(NEXT) | instid1(VALU_DEP_4)
	v_and_b32_e32 v43, 0x3fc, v43
	v_and_b32_e32 v21, 0x3fc, v21
	global_load_b32 v43, v43, s[12:13]
	global_load_b32 v21, v21, s[14:15]
	global_load_b32 v52, v38, s[16:17] scale_offset
	global_load_b32 v56, v51, s[2:3]
	s_wait_loadcnt 0x5
	v_perm_b32 v42, v54, v42, 0x70c0c00
	s_wait_loadcnt 0x2
	s_wait_xcnt 0x2
	v_xor_b32_e32 v21, v21, v43
	s_wait_loadcnt 0x0
	s_delay_alu instid0(VALU_DEP_1) | instskip(SKIP_2) | instid1(VALU_DEP_2)
	v_xor3_b32 v43, v21, v56, v52
	v_dual_lshrrev_b32 v21, 14, v44 :: v_dual_lshrrev_b32 v38, 22, v31
	v_lshrrev_b32_e32 v44, 22, v44
	v_and_b32_e32 v21, 0x3fc, v21
	s_delay_alu instid0(VALU_DEP_3)
	v_and_b32_e32 v38, 0x3fc, v38
	global_load_b32 v51, v38, s[14:15]
	global_load_b32 v57, v46, s[12:13]
	s_wait_xcnt 0x1
	v_and_b32_e32 v38, 0xff00, v47
	s_wait_xcnt 0x0
	v_and_b32_e32 v46, 0xff0000, v55
	v_xor_b32_e32 v47, v30, v20
	v_and_b32_e32 v44, 0x3fc, v44
	s_delay_alu instid0(VALU_DEP_3) | instskip(NEXT) | instid1(VALU_DEP_3)
	v_or3_b32 v38, v42, v46, v38
	v_lshrrev_b32_e32 v42, 6, v47
	v_bitop3_b32 v46, v7, 0xff, v24 bitop3:0x48
	s_delay_alu instid0(VALU_DEP_2) | instskip(SKIP_4) | instid1(VALU_DEP_1)
	v_and_b32_e32 v42, 0x3fc, v42
	global_load_b32 v54, v46, s[16:17] scale_offset
	global_load_b32 v55, v42, s[2:3]
	s_wait_xcnt 0x0
	v_dual_lshrrev_b32 v42, 22, v53 :: v_dual_lshrrev_b32 v46, 6, v23
	v_and_b32_e32 v42, 0x3fc, v42
	global_load_b32 v52, v42, s[14:15]
	global_load_b32 v56, v21, s[12:13]
	s_wait_xcnt 0x1
	v_lshrrev_b32_e32 v42, 14, v23
	v_and_b32_e32 v46, 0x3fc, v46
	global_load_b32 v28, v28, s[16:17] scale_offset
	v_xor_b32_e32 v7, v7, v24
	v_and_b32_e32 v42, 0x3fc, v42
	s_wait_loadcnt 0x5
	s_wait_xcnt 0x1
	v_xor_b32_e32 v21, v51, v57
	global_load_b32 v51, v46, s[2:3]
	global_load_b32 v57, v44, s[14:15]
	;; [unrolled: 1-line block ×3, first 2 shown]
	s_wait_xcnt 0x0
	v_dual_lshrrev_b32 v42, 6, v41 :: v_dual_lshrrev_b32 v41, 14, v41
	v_dual_lshrrev_b32 v44, 6, v31 :: v_dual_lshrrev_b32 v31, 14, v31
	global_load_b32 v27, v27, s[16:17] scale_offset
	v_and_b32_e32 v42, 0x3fc, v42
	v_and_b32_e32 v41, 0x3fc, v41
	v_bitop3_b32 v46, v48, 0xff, v10 bitop3:0x48
	v_lshrrev_b32_e32 v23, 22, v23
	v_and_b32_e32 v44, 0x3fc, v44
	s_delay_alu instid0(VALU_DEP_2)
	v_and_b32_e32 v23, 0x3fc, v23
	s_wait_loadcnt 0x7
	v_xor3_b32 v21, v21, v55, v54
	global_load_b32 v48, v42, s[2:3]
	global_load_b32 v54, v35, s[16:17] scale_offset
	global_load_b32 v55, v41, s[12:13]
	s_wait_xcnt 0x1
	v_lshrrev_b32_e32 v35, 6, v53
	v_lshrrev_b32_e32 v42, 22, v45
	global_load_b32 v23, v23, s[14:15]
	global_load_b32 v25, v25, s[16:17] scale_offset
	v_and_b32_e32 v35, 0x3fc, v35
	v_and_b32_e32 v42, 0x3fc, v42
	s_wait_loadcnt 0xa
	s_wait_xcnt 0x2
	v_xor_b32_e32 v41, v52, v56
	global_load_b32 v35, v35, s[2:3]
	global_load_b32 v42, v42, s[14:15]
	s_wait_loadcnt 0xa
	v_xor3_b32 v41, v41, v51, v28
	v_dual_lshrrev_b32 v28, 14, v47 :: v_dual_lshrrev_b32 v47, 22, v47
	s_wait_loadcnt 0x8
	v_dual_lshrrev_b32 v51, 14, v7 :: v_dual_bitop2_b32 v52, v57, v58 bitop3:0x14
	v_lshrrev_b32_e32 v53, 6, v7
	s_delay_alu instid0(VALU_DEP_3)
	v_and_b32_e32 v28, 0x3fc, v28
	v_and_b32_e32 v47, 0x3fc, v47
	v_lshrrev_b32_e32 v7, 22, v7
	v_and_b32_e32 v51, 0x3fc, v51
	v_and_b32_e32 v53, 0x3fc, v53
	global_load_b32 v56, v28, s[12:13]
	global_load_b32 v57, v47, s[14:15]
	;; [unrolled: 1-line block ×3, first 2 shown]
	s_wait_xcnt 0x2
	v_and_b32_e32 v28, 0x3fc, v31
	s_clause 0x1
	global_load_b32 v31, v53, s[2:3]
	global_load_b32 v47, v44, s[2:3]
	global_load_b32 v51, v46, s[16:17] scale_offset
	v_and_b32_e32 v7, 0x3fc, v7
	global_load_b32 v44, v28, s[12:13]
	global_load_b32 v46, v7, s[14:15]
	s_wait_xcnt 0x0
	v_lshrrev_b32_e32 v7, 6, v45
	v_bitop3_b32 v28, v30, 0xff, v20 bitop3:0x48
	s_wait_loadcnt 0xd
	v_xor3_b32 v48, v52, v48, v54
	v_xor_b32_e32 v52, v50, v9
	v_and_b32_e32 v7, 0x3fc, v7
	global_load_b32 v30, v28, s[16:17] scale_offset
	global_load_b32 v45, v7, s[2:3]
	s_wait_xcnt 0x1
	v_xor_b32_e32 v28, v32, v33
	s_wait_loadcnt 0xd
	s_wait_xcnt 0x0
	v_xor_b32_e32 v7, v23, v55
	v_dual_lshrrev_b32 v55, 6, v52 :: v_dual_bitop2_b32 v23, v49, v26 bitop3:0x14
	v_bitop3_b32 v32, v32, 0xff, v33 bitop3:0x48
	v_lshrrev_b32_e32 v53, 14, v28
	s_wait_loadcnt 0xb
	v_xor3_b32 v35, v7, v35, v25
	v_bitop3_b32 v25, v29, 0xff, v34 bitop3:0x48
	v_and_b32_e32 v55, 0x3fc, v55
	v_and_b32_e32 v53, 0x3fc, v53
	global_load_b32 v25, v25, s[16:17] scale_offset
	s_wait_loadcnt 0xa
	v_xor_b32_e32 v42, v42, v56
	s_wait_loadcnt 0x7
	s_delay_alu instid0(VALU_DEP_1)
	v_xor3_b32 v42, v42, v31, v27
	v_dual_lshrrev_b32 v27, 22, v28 :: v_dual_bitop2_b32 v7, v29, v34 bitop3:0x14
	v_lshrrev_b32_e32 v31, 14, v52
	v_bitop3_b32 v29, v49, 0xff, v26 bitop3:0x48
	v_dual_lshrrev_b32 v49, 22, v23 :: v_dual_bitop2_b32 v54, v57, v58 bitop3:0x14
	v_lshrrev_b32_e32 v52, 22, v52
	v_and_b32_e32 v27, 0x3fc, v27
	v_and_b32_e32 v31, 0x3fc, v31
	s_delay_alu instid0(VALU_DEP_4)
	v_and_b32_e32 v49, 0x3fc, v49
	s_wait_loadcnt 0x5
	v_xor3_b32 v47, v54, v47, v51
	v_lshrrev_b32_e32 v51, 6, v7
	global_load_b32 v29, v29, s[16:17] scale_offset
	global_load_b32 v56, v49, s[14:15]
	global_load_b32 v57, v53, s[12:13]
	s_wait_loadcnt 0x6
	v_dual_lshrrev_b32 v54, 14, v7 :: v_dual_bitop2_b32 v44, v46, v44 bitop3:0x14
	s_wait_xcnt 0x1
	v_and_b32_e32 v49, 0x3fc, v51
	global_load_b32 v51, v27, s[14:15]
	global_load_b32 v53, v31, s[12:13]
	s_wait_xcnt 0x1
	v_and_b32_e32 v27, 0x3fc, v52
	global_load_b32 v52, v55, s[2:3]
	v_dual_lshrrev_b32 v46, 6, v23 :: v_dual_lshrrev_b32 v23, 14, v23
	global_load_b32 v49, v49, s[2:3]
	s_wait_xcnt 0x2
	v_and_b32_e32 v31, 0x3fc, v54
	global_load_b32 v54, v27, s[14:15]
	global_load_b32 v55, v31, s[12:13]
	v_and_b32_e32 v46, 0x3fc, v46
	s_wait_xcnt 0x1
	v_dual_lshrrev_b32 v7, 22, v7 :: v_dual_lshrrev_b32 v27, 6, v28
	global_load_b32 v58, v32, s[16:17] scale_offset
	v_and_b32_e32 v23, 0x3fc, v23
	global_load_b32 v28, v46, s[2:3]
	v_and_b32_e32 v7, 0x3fc, v7
	s_wait_xcnt 0x2
	v_bitop3_b32 v31, v50, 0xff, v9 bitop3:0x48
	v_and_b32_e32 v27, 0x3fc, v27
	global_load_b32 v46, v7, s[14:15]
	global_load_b32 v50, v23, s[12:13]
	global_load_b32 v59, v31, s[16:17] scale_offset
	global_load_b32 v60, v27, s[2:3]
	s_wait_xcnt 0x3
	v_xor_b32_e32 v7, v38, v8
	s_wait_loadcnt 0x10
	v_xor3_b32 v44, v44, v45, v30
	v_xor_b32_e32 v45, v39, v33
	v_xor_b32_e32 v38, v36, v26
	s_wait_loadcnt 0xc
	s_wait_xcnt 0x2
	v_xor_b32_e32 v23, v57, v56
	s_wait_loadcnt 0xa
	v_xor_b32_e32 v30, v51, v53
	v_xor_b32_e32 v51, v37, v34
	s_wait_loadcnt 0x9
	s_wait_xcnt 0x0
	v_xor3_b32 v27, v23, v52, v25
	v_xor_b32_e32 v56, v40, v9
	v_bitop3_b32 v37, v37, 0xff, v34 bitop3:0x48
	s_wait_loadcnt 0x8
	v_xor3_b32 v23, v30, v49, v29
	v_dual_lshrrev_b32 v29, 14, v45 :: v_dual_lshrrev_b32 v25, 22, v38
	v_xor_b32_e32 v31, 0x3000000, v7
	s_wait_loadcnt 0x6
	v_xor_b32_e32 v30, v54, v55
	s_delay_alu instid0(VALU_DEP_3)
	v_and_b32_e32 v29, 0x3fc, v29
	v_and_b32_e32 v25, 0x3fc, v25
	v_xor_b32_e32 v8, v31, v19
	global_load_b32 v52, v25, s[14:15]
	global_load_b32 v53, v29, s[12:13]
	v_xor_b32_e32 v32, v8, v24
	s_wait_xcnt 0x1
	v_lshrrev_b32_e32 v25, 14, v56
	s_wait_loadcnt 0x6
	v_xor3_b32 v30, v30, v28, v58
	s_wait_loadcnt 0x4
	v_dual_lshrrev_b32 v49, 22, v32 :: v_dual_bitop2_b32 v46, v46, v50 bitop3:0x14
	v_lshrrev_b32_e32 v28, 22, v45
	v_and_b32_e32 v50, 0x3fc, v25
	s_wait_xcnt 0x0
	s_delay_alu instid0(VALU_DEP_3) | instskip(NEXT) | instid1(VALU_DEP_3)
	v_and_b32_e32 v29, 0x3fc, v49
	v_and_b32_e32 v28, 0x3fc, v28
	global_load_b32 v25, v29, s[16:17]
	s_wait_xcnt 0x0
	v_dual_lshrrev_b32 v29, 6, v51 :: v_dual_lshrrev_b32 v49, 6, v56
	global_load_b32 v54, v28, s[14:15]
	global_load_b32 v55, v50, s[12:13]
	s_wait_xcnt 0x1
	v_bitop3_b32 v28, v36, 0xff, v26 bitop3:0x48
	global_load_b32 v36, v37, s[16:17] scale_offset
	v_and_b32_e32 v29, 0x3fc, v29
	v_and_b32_e32 v49, 0x3fc, v49
	global_load_b32 v37, v49, s[2:3]
	global_load_b32 v50, v28, s[16:17] scale_offset
	global_load_b32 v57, v29, s[2:3]
	s_wait_xcnt 0x1
	v_bitop3_b32 v28, v39, 0xff, v33 bitop3:0x48
	v_lshrrev_b32_e32 v39, 22, v56
	s_wait_xcnt 0x0
	v_bitop3_b32 v29, v40, 0xff, v9 bitop3:0x48
	v_dual_lshrrev_b32 v40, 14, v51 :: v_dual_lshrrev_b32 v45, 6, v45
	s_delay_alu instid0(VALU_DEP_3) | instskip(NEXT) | instid1(VALU_DEP_2)
	v_and_b32_e32 v39, 0x3fc, v39
	v_and_b32_e32 v40, 0x3fc, v40
	s_wait_loadcnt 0x7
	v_dual_lshrrev_b32 v52, 6, v38 :: v_dual_bitop2_b32 v49, v52, v53 bitop3:0x14
	v_lshrrev_b32_e32 v38, 14, v38
	global_load_b32 v53, v28, s[16:17] scale_offset
	s_wait_xcnt 0x0
	v_lshrrev_b32_e32 v28, 22, v51
	v_xor3_b32 v46, v46, v60, v59
	v_and_b32_e32 v51, 0x3fc, v52
	v_and_b32_e32 v38, 0x3fc, v38
	s_delay_alu instid0(VALU_DEP_4)
	v_and_b32_e32 v28, 0x3fc, v28
	s_wait_loadcnt 0x5
	v_xor_b32_e32 v52, v54, v55
	global_load_b32 v55, v39, s[14:15]
	global_load_b32 v56, v40, s[12:13]
	;; [unrolled: 1-line block ×3, first 2 shown]
	v_and_b32_e32 v45, 0x3fc, v45
	s_wait_loadcnt 0x6
	s_wait_xcnt 0x2
	v_xor3_b32 v39, v49, v37, v36
	v_xor_b32_e32 v36, v41, v33
	v_xor_b32_e32 v54, v43, v26
	global_load_b32 v37, v38, s[12:13]
	global_load_b32 v40, v51, s[2:3]
	s_wait_loadcnt 0x6
	s_wait_xcnt 0x2
	v_xor3_b32 v28, v52, v57, v50
	global_load_b32 v50, v29, s[16:17] scale_offset
	global_load_b32 v51, v45, s[2:3]
	v_dual_lshrrev_b32 v49, 14, v36 :: v_dual_lshrrev_b32 v38, 22, v54
	v_xor_b32_e32 v52, v35, v34
	v_bitop3_b32 v35, v35, 0xff, v34 bitop3:0x48
	s_wait_xcnt 0x1
	s_delay_alu instid0(VALU_DEP_3)
	v_and_b32_e32 v29, 0x3fc, v38
	v_and_b32_e32 v38, 0x3fc, v49
	global_load_b32 v45, v29, s[14:15]
	global_load_b32 v49, v38, s[12:13]
	s_wait_xcnt 0x1
	v_bitop3_b32 v29, v43, 0xff, v26 bitop3:0x48
	s_wait_xcnt 0x0
	v_xor_b32_e32 v38, v48, v9
	global_load_b32 v35, v35, s[16:17] scale_offset
	v_bitop3_b32 v48, v48, 0xff, v9 bitop3:0x48
	global_load_b32 v29, v29, s[16:17] scale_offset
	s_wait_loadcnt 0x9
	v_dual_lshrrev_b32 v55, 6, v54 :: v_dual_bitop2_b32 v43, v55, v56 bitop3:0x14
	s_wait_loadcnt 0x7
	v_dual_lshrrev_b32 v54, 14, v54 :: v_dual_bitop2_b32 v37, v58, v37 bitop3:0x14
	s_wait_loadcnt 0x6
	s_delay_alu instid0(VALU_DEP_2)
	v_xor3_b32 v40, v43, v40, v53
	v_dual_lshrrev_b32 v53, 22, v36 :: v_dual_lshrrev_b32 v43, 6, v38
	v_lshrrev_b32_e32 v36, 6, v36
	s_wait_loadcnt 0x4
	v_xor3_b32 v50, v37, v51, v50
	v_dual_lshrrev_b32 v37, 14, v38 :: v_dual_lshrrev_b32 v51, 6, v52
	v_and_b32_e32 v53, 0x3fc, v53
	v_lshrrev_b32_e32 v38, 22, v38
	v_and_b32_e32 v43, 0x3fc, v43
	s_delay_alu instid0(VALU_DEP_4)
	v_and_b32_e32 v37, 0x3fc, v37
	global_load_b32 v56, v53, s[14:15]
	global_load_b32 v57, v37, s[12:13]
	s_wait_xcnt 0x0
	v_and_b32_e32 v37, 0x3fc, v51
	s_wait_loadcnt 0x4
	v_dual_lshrrev_b32 v49, 14, v52 :: v_dual_bitop2_b32 v45, v45, v49 bitop3:0x14
	v_lshrrev_b32_e32 v51, 22, v52
	s_clause 0x1
	global_load_b32 v43, v43, s[2:3]
	global_load_b32 v37, v37, s[2:3]
	v_and_b32_e32 v38, 0x3fc, v38
	v_and_b32_e32 v49, 0x3fc, v49
	;; [unrolled: 1-line block ×3, first 2 shown]
	global_load_b32 v53, v38, s[14:15]
	global_load_b32 v54, v49, s[12:13]
	v_and_b32_e32 v51, 0x3fc, v51
	s_wait_xcnt 0x1
	v_bitop3_b32 v38, v41, 0xff, v33 bitop3:0x48
	v_and_b32_e32 v41, 0x3fc, v55
	global_load_b32 v49, v52, s[12:13]
	global_load_b32 v55, v51, s[14:15]
	v_and_b32_e32 v36, 0x3fc, v36
	global_load_b32 v38, v38, s[16:17] scale_offset
	global_load_b32 v51, v41, s[2:3]
	global_load_b32 v52, v48, s[16:17] scale_offset
	global_load_b32 v58, v36, s[2:3]
	s_wait_xcnt 0x1
	v_xor_b32_e32 v48, v21, v26
	s_wait_loadcnt 0xa
	s_wait_xcnt 0x0
	v_xor_b32_e32 v36, v56, v57
	s_wait_loadcnt 0x9
	v_xor3_b32 v41, v45, v43, v35
	v_bitop3_b32 v43, v21, 0xff, v26 bitop3:0x48
	v_lshrrev_b32_e32 v45, 22, v48
	s_wait_loadcnt 0x8
	v_xor3_b32 v21, v36, v37, v29
	v_xor_b32_e32 v36, v47, v9
	v_xor_b32_e32 v35, v42, v33
	v_bitop3_b32 v42, v42, 0xff, v33 bitop3:0x48
	s_wait_loadcnt 0x6
	v_xor_b32_e32 v37, v53, v54
	v_and_b32_e32 v45, 0x3fc, v45
	v_dual_lshrrev_b32 v54, 6, v36 :: v_dual_lshrrev_b32 v29, 14, v35
	v_xor_b32_e32 v53, v44, v34
	s_wait_loadcnt 0x4
	v_xor_b32_e32 v49, v55, v49
	v_bitop3_b32 v44, v44, 0xff, v34 bitop3:0x48
	v_bitop3_b32 v47, v47, 0xff, v9 bitop3:0x48
	v_and_b32_e32 v29, 0x3fc, v29
	global_load_b32 v55, v45, s[14:15]
	global_load_b32 v56, v29, s[12:13]
	s_wait_xcnt 0x0
	v_lshrrev_b32_e32 v29, 22, v35
	s_wait_loadcnt 0x4
	v_xor3_b32 v45, v37, v51, v38
	v_lshrrev_b32_e32 v37, 14, v36
	global_load_b32 v38, v44, s[16:17] scale_offset
	s_wait_loadcnt 0x3
	s_wait_xcnt 0x0
	v_xor3_b32 v44, v49, v58, v52
	v_and_b32_e32 v29, 0x3fc, v29
	v_lshrrev_b32_e32 v49, 6, v53
	v_and_b32_e32 v37, 0x3fc, v37
	v_and_b32_e32 v51, 0x3fc, v54
	v_dual_lshrrev_b32 v36, 22, v36 :: v_dual_lshrrev_b32 v52, 14, v53
	global_load_b32 v54, v29, s[14:15]
	global_load_b32 v57, v37, s[12:13]
	s_wait_xcnt 0x1
	v_and_b32_e32 v29, 0x3fc, v49
	global_load_b32 v37, v51, s[2:3]
	v_and_b32_e32 v36, 0x3fc, v36
	v_and_b32_e32 v49, 0x3fc, v52
	global_load_b32 v51, v43, s[16:17] scale_offset
	global_load_b32 v52, v29, s[2:3]
	global_load_b32 v58, v36, s[14:15]
	;; [unrolled: 1-line block ×3, first 2 shown]
	s_wait_xcnt 0x1
	v_dual_lshrrev_b32 v36, 6, v48 :: v_dual_lshrrev_b32 v43, 14, v48
	v_lshrrev_b32_e32 v35, 6, v35
	global_load_b32 v42, v42, s[16:17] scale_offset
	v_lshrrev_b32_e32 v48, 22, v53
	v_and_b32_e32 v36, 0x3fc, v36
	v_and_b32_e32 v43, 0x3fc, v43
	s_delay_alu instid0(VALU_DEP_3)
	v_and_b32_e32 v48, 0x3fc, v48
	global_load_b32 v36, v36, s[2:3]
	global_load_b32 v48, v48, s[14:15]
	s_wait_loadcnt 0xb
	v_xor_b32_e32 v29, v55, v56
	s_wait_loadcnt 0x8
	s_wait_xcnt 0x3
	v_xor_b32_e32 v49, v54, v57
	v_xor_b32_e32 v54, v46, v32
	;; [unrolled: 1-line block ×3, first 2 shown]
	s_wait_loadcnt 0x7
	v_xor3_b32 v37, v29, v37, v38
	global_load_b32 v38, v43, s[12:13]
	s_wait_xcnt 0x0
	v_xor_b32_e32 v43, v27, v31
	s_wait_loadcnt 0x6
	v_xor3_b32 v29, v49, v52, v51
	v_dual_lshrrev_b32 v51, 14, v54 :: v_dual_lshrrev_b32 v49, 22, v53
	v_and_b32_e32 v35, 0x3fc, v35
	v_lshrrev_b32_e32 v55, 6, v43
	s_wait_loadcnt 0x4
	v_xor_b32_e32 v52, v58, v59
	v_and_b32_e32 v51, 0x3fc, v51
	v_and_b32_e32 v49, 0x3fc, v49
	v_bitop3_b32 v46, v46, 0xff, v32 bitop3:0x48
	v_and_b32_e32 v55, 0x3fc, v55
	global_load_b32 v56, v47, s[16:17] scale_offset
	global_load_b32 v57, v35, s[2:3]
	global_load_b32 v58, v49, s[14:15]
	;; [unrolled: 1-line block ×3, first 2 shown]
                                        ; kill: killed $vgpr49
                                        ; kill: killed $vgpr47
                                        ; kill: killed $vgpr51
                                        ; kill: killed $vgpr35
	global_load_b32 v35, v55, s[2:3]
	s_wait_xcnt 0x2
	v_xor_b32_e32 v49, v39, v31
	v_bitop3_b32 v27, v27, 0xff, v31 bitop3:0x48
	v_bitop3_b32 v30, v30, 0xff, v8 bitop3:0x48
	;; [unrolled: 1-line block ×3, first 2 shown]
	s_wait_loadcnt 0x5
	v_xor_b32_e32 v47, v48, v38
	v_xor_b32_e32 v48, v40, v8
	v_xor3_b32 v38, v52, v36, v42
	s_wait_loadcnt 0x3
	s_wait_xcnt 0x1
	v_xor3_b32 v51, v47, v57, v56
	s_wait_loadcnt 0x0
	v_xor3_b32 v52, v58, v59, v35
	v_dual_lshrrev_b32 v35, 6, v49 :: v_dual_lshrrev_b32 v36, 22, v48
	v_xor_b32_e32 v42, v50, v32
	s_delay_alu instid0(VALU_DEP_2) | instskip(NEXT) | instid1(VALU_DEP_3)
	v_and_b32_e32 v35, 0x3fc, v35
	v_and_b32_e32 v36, 0x3fc, v36
	s_delay_alu instid0(VALU_DEP_3) | instskip(NEXT) | instid1(VALU_DEP_1)
	v_lshrrev_b32_e32 v47, 14, v42
	v_and_b32_e32 v47, 0x3fc, v47
	global_load_b32 v55, v36, s[14:15]
	global_load_b32 v56, v47, s[12:13]
	global_load_b32 v57, v35, s[2:3]
	s_wait_xcnt 0x0
	v_dual_lshrrev_b32 v35, 22, v43 :: v_dual_bitop2_b32 v47, v31, v10 bitop3:0x14
	v_lshrrev_b32_e32 v43, 14, v43
	s_delay_alu instid0(VALU_DEP_2) | instskip(NEXT) | instid1(VALU_DEP_2)
	v_and_b32_e32 v35, 0x3fc, v35
	v_and_b32_e32 v43, 0x3fc, v43
	s_wait_loadcnt 0x0
	v_xor3_b32 v36, v55, v56, v57
	v_xor_b32_e32 v55, v23, v47
	s_delay_alu instid0(VALU_DEP_1) | instskip(SKIP_1) | instid1(VALU_DEP_2)
	v_lshrrev_b32_e32 v56, 14, v55
	v_bitop3_b32 v23, v23, 0xff, v47 bitop3:0x48
	v_and_b32_e32 v56, 0x3fc, v56
	global_load_b32 v57, v35, s[14:15]
	global_load_b32 v58, v56, s[12:13]
	s_wait_xcnt 0x0
	v_dual_lshrrev_b32 v56, 6, v53 :: v_dual_lshrrev_b32 v53, 14, v53
	s_delay_alu instid0(VALU_DEP_1) | instskip(NEXT) | instid1(VALU_DEP_2)
	v_and_b32_e32 v56, 0x3fc, v56
	v_and_b32_e32 v53, 0x3fc, v53
	s_wait_loadcnt 0x0
	v_xor_b32_e32 v35, v58, v57
	global_load_b32 v57, v46, s[16:17] scale_offset
	global_load_b32 v58, v56, s[2:3]
	s_wait_xcnt 0x1
	v_lshrrev_b32_e32 v46, 22, v55
	s_delay_alu instid0(VALU_DEP_1)
	v_and_b32_e32 v46, 0x3fc, v46
	s_wait_loadcnt 0x0
	v_xor3_b32 v35, v35, v58, v57
	global_load_b32 v56, v46, s[14:15]
	global_load_b32 v57, v53, s[12:13]
	s_wait_xcnt 0x0
	v_dual_lshrrev_b32 v53, 6, v54 :: v_dual_lshrrev_b32 v54, 22, v54
	global_load_b32 v27, v27, s[16:17] scale_offset
	v_and_b32_e32 v53, 0x3fc, v53
	v_and_b32_e32 v54, 0x3fc, v54
	s_wait_loadcnt 0x1
	v_xor_b32_e32 v46, v56, v57
	global_load_b32 v56, v53, s[2:3]
	global_load_b32 v57, v54, s[14:15]
	global_load_b32 v58, v43, s[12:13]
	s_wait_xcnt 0x0
	v_dual_lshrrev_b32 v53, 22, v49 :: v_dual_bitop2_b32 v43, v28, v47 bitop3:0x14
	global_load_b32 v30, v30, s[16:17] scale_offset
	v_lshrrev_b32_e32 v49, 14, v49
	v_and_b32_e32 v53, 0x3fc, v53
	s_delay_alu instid0(VALU_DEP_2)
	v_and_b32_e32 v49, 0x3fc, v49
	s_wait_loadcnt 0x3
	v_xor3_b32 v27, v46, v56, v27
	s_wait_loadcnt 0x1
	v_dual_lshrrev_b32 v46, 6, v55 :: v_dual_bitop2_b32 v54, v57, v58 bitop3:0x14
	v_lshrrev_b32_e32 v55, 14, v43
	s_delay_alu instid0(VALU_DEP_2) | instskip(NEXT) | instid1(VALU_DEP_2)
	v_and_b32_e32 v46, 0x3fc, v46
	v_and_b32_e32 v55, 0x3fc, v55
	global_load_b32 v56, v46, s[2:3]
	global_load_b32 v57, v53, s[14:15]
	global_load_b32 v58, v55, s[12:13]
	s_wait_xcnt 0x2
	v_bitop3_b32 v46, v50, 0xff, v32 bitop3:0x48
	s_wait_xcnt 0x0
	v_dual_lshrrev_b32 v53, 22, v43 :: v_dual_lshrrev_b32 v55, 6, v42
	v_lshrrev_b32_e32 v42, 22, v42
	global_load_b32 v46, v46, s[16:17] scale_offset
	v_and_b32_e32 v42, 0x3fc, v42
	s_wait_loadcnt 0x3
	v_xor3_b32 v50, v54, v56, v30
	v_dual_lshrrev_b32 v30, 6, v48 :: v_dual_lshrrev_b32 v48, 14, v48
	v_and_b32_e32 v53, 0x3fc, v53
	s_wait_loadcnt 0x1
	v_xor_b32_e32 v54, v57, v58
	s_delay_alu instid0(VALU_DEP_3)
	v_and_b32_e32 v30, 0x3fc, v30
	v_and_b32_e32 v48, 0x3fc, v48
	global_load_b32 v56, v53, s[14:15]
	global_load_b32 v57, v48, s[12:13]
	;; [unrolled: 1-line block ×3, first 2 shown]
	s_wait_xcnt 0x1
	v_and_b32_e32 v48, 0x3fc, v55
	global_load_b32 v53, v39, s[16:17] scale_offset
	global_load_b32 v55, v48, s[2:3]
	global_load_b32 v58, v42, s[14:15]
	;; [unrolled: 1-line block ×3, first 2 shown]
	s_wait_xcnt 0x0
	v_xor_b32_e32 v49, v41, v31
	v_bitop3_b32 v39, v40, 0xff, v8 bitop3:0x48
	v_lshrrev_b32_e32 v42, 6, v43
	v_bitop3_b32 v41, v41, 0xff, v31 bitop3:0x48
	s_wait_loadcnt 0x5
	v_xor_b32_e32 v43, v56, v57
	s_wait_loadcnt 0x4
	v_xor3_b32 v40, v54, v30, v46
	v_dual_lshrrev_b32 v54, 6, v49 :: v_dual_bitop2_b32 v46, v44, v32 bitop3:0x14
	v_xor_b32_e32 v48, v45, v8
	v_and_b32_e32 v30, 0x3fc, v42
	s_wait_loadcnt 0x2
	v_xor3_b32 v59, v43, v55, v53
	v_lshrrev_b32_e32 v43, 14, v46
	global_load_b32 v55, v39, s[16:17] scale_offset
	global_load_b32 v56, v30, s[2:3]
	v_lshrrev_b32_e32 v42, 22, v48
	s_wait_loadcnt 0x2
	v_xor_b32_e32 v53, v58, v60
	s_wait_xcnt 0x1
	v_and_b32_e32 v39, 0x3fc, v43
	v_bitop3_b32 v45, v45, 0xff, v8 bitop3:0x48
	s_wait_xcnt 0x0
	v_and_b32_e32 v30, 0x3fc, v42
	v_and_b32_e32 v42, 0x3fc, v54
	global_load_b32 v43, v30, s[14:15]
	global_load_b32 v54, v39, s[12:13]
	;; [unrolled: 1-line block ×3, first 2 shown]
	s_wait_loadcnt 0x3
	v_xor3_b32 v53, v53, v56, v55
	v_xor_b32_e32 v56, v51, v32
	s_wait_xcnt 0x1
	s_delay_alu instid0(VALU_DEP_1)
	v_lshrrev_b32_e32 v39, 14, v56
	s_wait_loadcnt 0x0
	v_xor3_b32 v43, v43, v54, v57
	v_xor_b32_e32 v54, v37, v31
	v_xor_b32_e32 v55, v38, v8
	v_and_b32_e32 v39, 0x3fc, v39
	v_bitop3_b32 v37, v37, 0xff, v31 bitop3:0x48
	v_bitop3_b32 v38, v38, 0xff, v8 bitop3:0x48
	s_delay_alu instid0(VALU_DEP_4) | instskip(NEXT) | instid1(VALU_DEP_1)
	v_dual_lshrrev_b32 v42, 6, v54 :: v_dual_lshrrev_b32 v30, 22, v55
	v_and_b32_e32 v42, 0x3fc, v42
	s_delay_alu instid0(VALU_DEP_2)
	v_and_b32_e32 v30, 0x3fc, v30
	global_load_b32 v57, v30, s[14:15]
	global_load_b32 v58, v39, s[12:13]
                                        ; kill: killed $vgpr30
                                        ; kill: killed $vgpr39
	global_load_b32 v30, v42, s[2:3]
	s_wait_loadcnt 0x0
	v_xor3_b32 v42, v57, v58, v30
	v_dual_lshrrev_b32 v30, 22, v49 :: v_dual_bitop2_b32 v57, v21, v47 bitop3:0x14
	v_bitop3_b32 v21, v21, 0xff, v47 bitop3:0x48
	s_delay_alu instid0(VALU_DEP_2) | instskip(NEXT) | instid1(VALU_DEP_3)
	v_lshrrev_b32_e32 v39, 14, v57
	v_and_b32_e32 v30, 0x3fc, v30
	s_delay_alu instid0(VALU_DEP_2)
	v_and_b32_e32 v39, 0x3fc, v39
	global_load_b32 v30, v30, s[14:15]
	global_load_b32 v39, v39, s[12:13]
	s_wait_loadcnt 0x0
	v_xor_b32_e32 v30, v30, v39
	v_bitop3_b32 v39, v44, 0xff, v32 bitop3:0x48
	v_lshrrev_b32_e32 v44, 6, v48
	s_delay_alu instid0(VALU_DEP_1)
	v_and_b32_e32 v44, 0x3fc, v44
	global_load_b32 v39, v39, s[16:17] scale_offset
	global_load_b32 v44, v44, s[2:3]
	s_wait_loadcnt 0x0
	v_xor3_b32 v39, v30, v44, v39
	v_dual_lshrrev_b32 v44, 22, v57 :: v_dual_lshrrev_b32 v30, 14, v48
	s_delay_alu instid0(VALU_DEP_1) | instskip(NEXT) | instid1(VALU_DEP_2)
	v_and_b32_e32 v44, 0x3fc, v44
	v_and_b32_e32 v30, 0x3fc, v30
	global_load_b32 v48, v44, s[14:15]
	global_load_b32 v58, v30, s[12:13]
	s_wait_xcnt 0x1
	v_lshrrev_b32_e32 v44, 6, v46
	s_delay_alu instid0(VALU_DEP_1)
	v_and_b32_e32 v44, 0x3fc, v44
	s_wait_loadcnt 0x0
	v_xor_b32_e32 v30, v48, v58
	global_load_b32 v48, v41, s[16:17] scale_offset
	global_load_b32 v58, v44, s[2:3]
	s_wait_xcnt 0x0
	v_dual_lshrrev_b32 v41, 22, v46 :: v_dual_lshrrev_b32 v44, 14, v49
	v_lshrrev_b32_e32 v46, 6, v57
	s_delay_alu instid0(VALU_DEP_2) | instskip(NEXT) | instid1(VALU_DEP_3)
	v_and_b32_e32 v41, 0x3fc, v41
	v_and_b32_e32 v44, 0x3fc, v44
	s_delay_alu instid0(VALU_DEP_3)
	v_and_b32_e32 v46, 0x3fc, v46
	s_wait_loadcnt 0x0
	v_xor3_b32 v30, v30, v58, v48
	global_load_b32 v48, v41, s[14:15]
	global_load_b32 v49, v44, s[12:13]
	global_load_b32 v57, v45, s[16:17] scale_offset
	global_load_b32 v58, v46, s[2:3]
	s_wait_xcnt 0x2
	v_xor_b32_e32 v44, v29, v47
	v_bitop3_b32 v29, v29, 0xff, v47 bitop3:0x48
	s_wait_xcnt 0x0
	s_delay_alu instid0(VALU_DEP_2) | instskip(NEXT) | instid1(VALU_DEP_1)
	v_lshrrev_b32_e32 v46, 14, v44
	v_and_b32_e32 v46, 0x3fc, v46
	s_wait_loadcnt 0x2
	v_xor_b32_e32 v41, v48, v49
	s_wait_loadcnt 0x0
	s_delay_alu instid0(VALU_DEP_1) | instskip(SKIP_1) | instid1(VALU_DEP_1)
	v_xor3_b32 v45, v41, v58, v57
	v_lshrrev_b32_e32 v41, 22, v54
	v_and_b32_e32 v41, 0x3fc, v41
	global_load_b32 v48, v41, s[14:15]
	global_load_b32 v49, v46, s[12:13]
	s_wait_xcnt 0x0
	v_lshrrev_b32_e32 v46, 6, v55
	s_delay_alu instid0(VALU_DEP_1)
	v_and_b32_e32 v46, 0x3fc, v46
	s_wait_loadcnt 0x0
	v_xor_b32_e32 v41, v48, v49
	v_bitop3_b32 v48, v51, 0xff, v32 bitop3:0x48
	global_load_b32 v49, v48, s[16:17] scale_offset
	global_load_b32 v51, v46, s[2:3]
	s_wait_xcnt 0x0
	v_dual_lshrrev_b32 v46, 14, v32 :: v_dual_lshrrev_b32 v48, 6, v32
	s_delay_alu instid0(VALU_DEP_1)
	v_and_b32_e32 v46, 0x3fc, v46
	global_load_b32 v46, v46, s[14:15]
	s_wait_loadcnt 0x1
	v_xor3_b32 v41, v41, v51, v49
	v_lshrrev_b32_e32 v49, 14, v55
	v_and_b32_e32 v48, 0x3fc, v48
	s_delay_alu instid0(VALU_DEP_2) | instskip(SKIP_3) | instid1(VALU_DEP_1)
	v_and_b32_e32 v49, 0x3fc, v49
	s_wait_loadcnt 0x0
	v_perm_b32 v25, v25, v46, 0x7020c0c
	v_lshrrev_b32_e32 v46, 22, v44
	v_and_b32_e32 v46, 0x3fc, v46
	global_load_b32 v51, v48, s[12:13]
	global_load_b32 v55, v46, s[14:15]
	;; [unrolled: 1-line block ×3, first 2 shown]
	s_wait_xcnt 0x0
	v_bitop3_b32 v49, v8, 0xff, v24 bitop3:0x48
	s_wait_loadcnt 0x2
	v_and_or_b32 v48, 0xff00, v51, v25
	s_wait_loadcnt 0x0
	v_dual_lshrrev_b32 v25, 6, v56 :: v_dual_bitop2_b32 v46, v55, v57 bitop3:0x14
	s_delay_alu instid0(VALU_DEP_1)
	v_and_b32_e32 v25, 0x3fc, v25
	global_load_b32 v51, v49, s[2:3] scale_offset
	global_load_b32 v55, v37, s[16:17] scale_offset
	global_load_b32 v57, v25, s[2:3]
	global_load_b32 v23, v23, s[16:17] scale_offset
	s_wait_loadcnt 0x3
	s_wait_xcnt 0x3
	v_and_b32_e32 v49, 0xff, v51
	v_lshrrev_b32_e32 v51, 14, v54
	s_wait_loadcnt 0x1
	s_wait_xcnt 0x2
	v_xor3_b32 v37, v46, v57, v55
	s_wait_loadcnt 0x0
	v_xor3_b32 v52, v52, v23, v9
	v_bitop3_b32 v25, v48, v13, v49 bitop3:0x36
	v_or_b32_e32 v48, v48, v49
	v_and_b32_e32 v51, 0x3fc, v51
	v_lshrrev_b32_e32 v44, 6, v44
	s_delay_alu instid0(VALU_DEP_4) | instskip(SKIP_1) | instid1(VALU_DEP_3)
	v_xor_b32_e32 v46, v25, v12
	v_dual_lshrrev_b32 v49, 22, v56 :: v_dual_bitop2_b32 v78, v59, v25 bitop3:0x14
	v_and_b32_e32 v44, 0x3fc, v44
	v_bitop3_b32 v59, v59, 0xff, v25 bitop3:0x48
	s_delay_alu instid0(VALU_DEP_4) | instskip(NEXT) | instid1(VALU_DEP_4)
	v_dual_lshrrev_b32 v54, 22, v46 :: v_dual_lshrrev_b32 v23, 14, v46
	v_and_b32_e32 v49, 0x3fc, v49
	s_delay_alu instid0(VALU_DEP_2) | instskip(NEXT) | instid1(VALU_DEP_3)
	v_and_b32_e32 v54, 0x3fc, v54
	v_and_b32_e32 v23, 0x3fc, v23
	global_load_b32 v55, v49, s[14:15]
	global_load_b32 v56, v51, s[12:13]
	;; [unrolled: 1-line block ×4, first 2 shown]
	s_wait_xcnt 0x3
	v_lshrrev_b32_e32 v49, 6, v46
	s_wait_xcnt 0x1
	v_bitop3_b32 v54, v25, 0xff, v12 bitop3:0x48
	s_delay_alu instid0(VALU_DEP_2)
	v_and_b32_e32 v49, 0x3fc, v49
	s_wait_loadcnt 0x2
	s_wait_xcnt 0x0
	v_xor_b32_e32 v23, v55, v56
	s_wait_loadcnt 0x0
	v_perm_b32 v51, v58, v57, 0x70c0c00
	global_load_b32 v55, v38, s[16:17] scale_offset
	global_load_b32 v56, v54, s[12:13] scale_offset
	global_load_b32 v57, v49, s[14:15]
	global_load_b32 v58, v44, s[2:3]
	s_wait_xcnt 0x1
	v_xor_b32_e32 v49, v48, v26
	s_delay_alu instid0(VALU_DEP_1)
	v_xor_b32_e32 v48, v35, v49
	s_wait_loadcnt 0x2
	v_and_b32_e32 v38, 0xff00, v56
	s_wait_loadcnt 0x1
	s_wait_xcnt 0x0
	v_and_b32_e32 v44, 0xff0000, v57
	v_xor_b32_e32 v56, v50, v46
	v_bitop3_b32 v50, v50, 0xff, v46 bitop3:0x48
	s_delay_alu instid0(VALU_DEP_3) | instskip(NEXT) | instid1(VALU_DEP_3)
	v_or3_b32 v38, v51, v44, v38
	v_lshrrev_b32_e32 v44, 14, v56
	s_wait_loadcnt 0x0
	v_xor3_b32 v54, v23, v58, v55
	v_dual_lshrrev_b32 v51, 6, v48 :: v_dual_bitop2_b32 v55, v52, v25 bitop3:0x14
	v_xor_b32_e32 v77, v40, v49
	v_and_b32_e32 v44, 0x3fc, v44
	s_delay_alu instid0(VALU_DEP_3) | instskip(NEXT) | instid1(VALU_DEP_4)
	v_dual_lshrrev_b32 v23, 22, v55 :: v_dual_bitop2_b32 v76, v53, v46 bitop3:0x14
	v_and_b32_e32 v51, 0x3fc, v51
	v_bitop3_b32 v35, v35, 0xff, v49 bitop3:0x48
	v_xor_b32_e32 v7, v38, v7
	v_bitop3_b32 v40, v40, 0xff, v49 bitop3:0x48
	v_and_b32_e32 v23, 0x3fc, v23
	global_load_b32 v57, v23, s[14:15]
	global_load_b32 v58, v44, s[12:13]
                                        ; kill: killed $vgpr23
                                        ; kill: killed $vgpr44
	global_load_b32 v23, v51, s[2:3]
	s_wait_xcnt 0x0
	v_lshrrev_b32_e32 v51, 6, v77
	v_xor_b32_e32 v61, v41, v49
	v_bitop3_b32 v41, v41, 0xff, v49 bitop3:0x48
	s_delay_alu instid0(VALU_DEP_3) | instskip(NEXT) | instid1(VALU_DEP_3)
	v_and_b32_e32 v51, 0x3fc, v51
	v_lshrrev_b32_e32 v62, 6, v61
	s_delay_alu instid0(VALU_DEP_1)
	v_and_b32_e32 v62, 0x3fc, v62
	s_wait_loadcnt 0x0
	v_xor3_b32 v44, v57, v58, v23
	v_bitop3_b32 v23, v28, 0xff, v47 bitop3:0x48
	global_load_b32 v23, v23, s[16:17] scale_offset
	s_wait_loadcnt 0x0
	v_xor3_b32 v75, v36, v23, v9
	s_delay_alu instid0(VALU_DEP_1) | instskip(NEXT) | instid1(VALU_DEP_1)
	v_dual_lshrrev_b32 v36, 14, v76 :: v_dual_bitop2_b32 v28, v75, v25 bitop3:0x14
	v_and_b32_e32 v36, 0x3fc, v36
	s_delay_alu instid0(VALU_DEP_2) | instskip(SKIP_1) | instid1(VALU_DEP_2)
	v_lshrrev_b32_e32 v23, 22, v28
	v_lshrrev_b32_e32 v38, 14, v48
	v_and_b32_e32 v23, 0x3fc, v23
	global_load_b32 v23, v23, s[14:15]
	global_load_b32 v36, v36, s[12:13]
	;; [unrolled: 1-line block ×3, first 2 shown]
	v_and_b32_e32 v38, 0x3fc, v38
	s_wait_loadcnt 0x0
	v_xor3_b32 v60, v23, v36, v51
	v_dual_lshrrev_b32 v23, 22, v48 :: v_dual_bitop2_b32 v36, v27, v25 bitop3:0x14
	v_bitop3_b32 v27, v27, 0xff, v25 bitop3:0x48
	s_delay_alu instid0(VALU_DEP_2) | instskip(NEXT) | instid1(VALU_DEP_3)
	v_lshrrev_b32_e32 v51, 14, v36
	v_and_b32_e32 v23, 0x3fc, v23
	s_delay_alu instid0(VALU_DEP_2)
	v_and_b32_e32 v51, 0x3fc, v51
	global_load_b32 v23, v23, s[14:15]
	global_load_b32 v51, v51, s[12:13]
	s_wait_loadcnt 0x0
	v_xor_b32_e32 v23, v51, v23
	v_lshrrev_b32_e32 v51, 6, v55
	s_delay_alu instid0(VALU_DEP_1)
	v_and_b32_e32 v51, 0x3fc, v51
	global_load_b32 v50, v50, s[16:17] scale_offset
	global_load_b32 v51, v51, s[2:3]
	s_wait_loadcnt 0x0
	v_xor3_b32 v23, v23, v51, v50
	v_dual_lshrrev_b32 v51, 22, v36 :: v_dual_lshrrev_b32 v50, 14, v55
	s_delay_alu instid0(VALU_DEP_1) | instskip(NEXT) | instid1(VALU_DEP_2)
	v_and_b32_e32 v51, 0x3fc, v51
	v_and_b32_e32 v50, 0x3fc, v50
	global_load_b32 v51, v51, s[14:15]
	global_load_b32 v50, v50, s[12:13]
	s_wait_loadcnt 0x0
	v_dual_lshrrev_b32 v51, 6, v56 :: v_dual_bitop2_b32 v50, v51, v50 bitop3:0x14
	s_delay_alu instid0(VALU_DEP_1)
	v_and_b32_e32 v51, 0x3fc, v51
	global_load_b32 v35, v35, s[16:17] scale_offset
	global_load_b32 v51, v51, s[2:3]
	s_wait_loadcnt 0x0
	v_xor3_b32 v50, v50, v51, v35
	v_dual_lshrrev_b32 v35, 22, v56 :: v_dual_bitop2_b32 v56, v39, v49 bitop3:0x14
	v_bitop3_b32 v39, v39, 0xff, v49 bitop3:0x48
	s_delay_alu instid0(VALU_DEP_2) | instskip(SKIP_3) | instid1(VALU_DEP_1)
	v_and_b32_e32 v35, 0x3fc, v35
	global_load_b32 v35, v35, s[14:15]
	global_load_b32 v38, v38, s[12:13]
	v_lshrrev_b32_e32 v57, 6, v56
	v_and_b32_e32 v57, 0x3fc, v57
	s_wait_loadcnt 0x0
	v_dual_lshrrev_b32 v35, 6, v36 :: v_dual_bitop2_b32 v48, v35, v38 bitop3:0x14
	v_bitop3_b32 v36, v52, 0xff, v25 bitop3:0x48
	s_delay_alu instid0(VALU_DEP_2)
	v_and_b32_e32 v35, 0x3fc, v35
	global_load_b32 v51, v36, s[16:17] scale_offset
	global_load_b32 v52, v35, s[2:3]
	s_wait_xcnt 0x1
	v_xor_b32_e32 v36, 0x7000000, v7
	s_wait_xcnt 0x0
	s_delay_alu instid0(VALU_DEP_1) | instskip(NEXT) | instid1(VALU_DEP_1)
	v_xor_b32_e32 v35, v36, v47
	v_xor_b32_e32 v38, v35, v24
	s_wait_loadcnt 0x0
	v_xor3_b32 v52, v48, v52, v51
	s_delay_alu instid0(VALU_DEP_2) | instskip(SKIP_1) | instid1(VALU_DEP_2)
	v_dual_lshrrev_b32 v48, 22, v77 :: v_dual_lshrrev_b32 v55, 22, v38
	v_lshrrev_b32_e32 v51, 14, v78
	v_and_b32_e32 v48, 0x3fc, v48
	s_delay_alu instid0(VALU_DEP_3) | instskip(NEXT) | instid1(VALU_DEP_3)
	v_and_b32_e32 v55, 0x3fc, v55
	v_and_b32_e32 v51, 0x3fc, v51
	global_load_b32 v55, v55, s[16:17]
	global_load_b32 v48, v48, s[14:15]
	;; [unrolled: 1-line block ×3, first 2 shown]
	s_wait_loadcnt 0x0
	v_xor_b32_e32 v48, v48, v51
	v_bitop3_b32 v51, v53, 0xff, v46 bitop3:0x48
	v_dual_lshrrev_b32 v53, 6, v28 :: v_dual_lshrrev_b32 v28, 14, v28
	s_delay_alu instid0(VALU_DEP_1)
	v_and_b32_e32 v53, 0x3fc, v53
	global_load_b32 v51, v51, s[16:17] scale_offset
	global_load_b32 v53, v53, s[2:3]
	v_and_b32_e32 v28, 0x3fc, v28
	s_wait_loadcnt 0x0
	v_xor3_b32 v48, v48, v53, v51
	v_lshrrev_b32_e32 v51, 22, v78
	s_delay_alu instid0(VALU_DEP_1)
	v_and_b32_e32 v51, 0x3fc, v51
	global_load_b32 v51, v51, s[14:15]
	global_load_b32 v28, v28, s[12:13]
	s_wait_loadcnt 0x0
	v_xor_b32_e32 v28, v51, v28
	v_lshrrev_b32_e32 v51, 6, v76
	s_delay_alu instid0(VALU_DEP_1)
	v_and_b32_e32 v51, 0x3fc, v51
	global_load_b32 v40, v40, s[16:17] scale_offset
	global_load_b32 v51, v51, s[2:3]
	global_load_b32 v21, v21, s[16:17] scale_offset
	s_wait_loadcnt 0x0
	v_xor3_b32 v21, v43, v21, v9
	v_xor_b32_e32 v43, v45, v46
	v_bitop3_b32 v45, v45, 0xff, v46 bitop3:0x48
	s_delay_alu instid0(VALU_DEP_2) | instskip(SKIP_3) | instid1(VALU_DEP_4)
	v_lshrrev_b32_e32 v53, 14, v43
	v_xor3_b32 v51, v28, v51, v40
	v_xor_b32_e32 v28, v21, v25
	v_bitop3_b32 v21, v21, 0xff, v25 bitop3:0x48
	v_and_b32_e32 v53, 0x3fc, v53
	s_delay_alu instid0(VALU_DEP_3) | instskip(NEXT) | instid1(VALU_DEP_1)
	v_lshrrev_b32_e32 v40, 22, v28
	v_and_b32_e32 v40, 0x3fc, v40
	global_load_b32 v40, v40, s[14:15]
	global_load_b32 v53, v53, s[12:13]
	global_load_b32 v57, v57, s[2:3]
	global_load_b32 v29, v29, s[16:17] scale_offset
	s_wait_loadcnt 0x1
	s_wait_xcnt 0x3
	v_xor3_b32 v40, v40, v53, v57
	s_wait_loadcnt 0x0
	v_xor3_b32 v42, v42, v29, v9
	v_xor_b32_e32 v57, v54, v46
	s_delay_alu instid0(VALU_DEP_2) | instskip(NEXT) | instid1(VALU_DEP_2)
	v_xor_b32_e32 v53, v42, v25
	v_lshrrev_b32_e32 v58, 14, v57
	v_bitop3_b32 v42, v42, 0xff, v25 bitop3:0x48
	s_delay_alu instid0(VALU_DEP_3) | instskip(NEXT) | instid1(VALU_DEP_3)
	v_lshrrev_b32_e32 v29, 22, v53
	v_and_b32_e32 v58, 0x3fc, v58
	s_delay_alu instid0(VALU_DEP_2)
	v_and_b32_e32 v29, 0x3fc, v29
	global_load_b32 v29, v29, s[14:15]
	global_load_b32 v58, v58, s[12:13]
	;; [unrolled: 1-line block ×3, first 2 shown]
	s_wait_loadcnt 0x0
	v_xor3_b32 v58, v29, v58, v62
	v_dual_lshrrev_b32 v29, 22, v56 :: v_dual_bitop2_b32 v62, v30, v25 bitop3:0x14
	s_delay_alu instid0(VALU_DEP_1) | instskip(NEXT) | instid1(VALU_DEP_2)
	v_lshrrev_b32_e32 v63, 14, v62
	v_and_b32_e32 v29, 0x3fc, v29
	s_delay_alu instid0(VALU_DEP_2)
	v_and_b32_e32 v63, 0x3fc, v63
	global_load_b32 v29, v29, s[14:15]
	global_load_b32 v63, v63, s[12:13]
	s_wait_loadcnt 0x0
	v_dual_lshrrev_b32 v63, 6, v28 :: v_dual_bitop2_b32 v29, v29, v63 bitop3:0x14
	v_lshrrev_b32_e32 v28, 14, v28
	s_delay_alu instid0(VALU_DEP_2)
	v_and_b32_e32 v63, 0x3fc, v63
	global_load_b32 v45, v45, s[16:17] scale_offset
	global_load_b32 v63, v63, s[2:3]
	s_wait_loadcnt 0x0
	v_xor3_b32 v29, v29, v63, v45
	v_lshrrev_b32_e32 v45, 22, v62
	v_and_b32_e32 v28, 0x3fc, v28
	s_delay_alu instid0(VALU_DEP_2) | instskip(SKIP_4) | instid1(VALU_DEP_1)
	v_and_b32_e32 v45, 0x3fc, v45
	global_load_b32 v45, v45, s[14:15]
	global_load_b32 v28, v28, s[12:13]
	s_wait_loadcnt 0x0
	v_dual_lshrrev_b32 v45, 6, v43 :: v_dual_bitop2_b32 v28, v45, v28 bitop3:0x14
	v_and_b32_e32 v45, 0x3fc, v45
	global_load_b32 v39, v39, s[16:17] scale_offset
	global_load_b32 v45, v45, s[2:3]
	s_wait_loadcnt 0x0
	v_xor3_b32 v28, v28, v45, v39
	v_dual_lshrrev_b32 v39, 22, v43 :: v_dual_lshrrev_b32 v43, 14, v56
	s_delay_alu instid0(VALU_DEP_1) | instskip(NEXT) | instid1(VALU_DEP_2)
	v_and_b32_e32 v39, 0x3fc, v39
	v_and_b32_e32 v43, 0x3fc, v43
	global_load_b32 v39, v39, s[14:15]
	global_load_b32 v43, v43, s[12:13]
	s_wait_loadcnt 0x0
	v_dual_lshrrev_b32 v43, 6, v62 :: v_dual_bitop2_b32 v39, v39, v43 bitop3:0x14
	s_delay_alu instid0(VALU_DEP_1)
	v_and_b32_e32 v43, 0x3fc, v43
	global_load_b32 v21, v21, s[16:17] scale_offset
	global_load_b32 v43, v43, s[2:3]
	s_wait_loadcnt 0x0
	v_xor3_b32 v39, v39, v43, v21
	v_xor_b32_e32 v43, v37, v25
	v_lshrrev_b32_e32 v21, 22, v61
	v_bitop3_b32 v37, v37, 0xff, v25 bitop3:0x48
	s_delay_alu instid0(VALU_DEP_3) | instskip(NEXT) | instid1(VALU_DEP_3)
	v_lshrrev_b32_e32 v45, 14, v43
	v_and_b32_e32 v21, 0x3fc, v21
	s_delay_alu instid0(VALU_DEP_2)
	v_and_b32_e32 v45, 0x3fc, v45
	global_load_b32 v21, v21, s[14:15]
	global_load_b32 v45, v45, s[12:13]
	s_wait_loadcnt 0x0
	v_xor_b32_e32 v21, v21, v45
	v_bitop3_b32 v45, v54, 0xff, v46 bitop3:0x48
	v_lshrrev_b32_e32 v54, 6, v53
	s_delay_alu instid0(VALU_DEP_1)
	v_and_b32_e32 v54, 0x3fc, v54
	global_load_b32 v45, v45, s[16:17] scale_offset
	global_load_b32 v54, v54, s[2:3]
	s_wait_loadcnt 0x0
	v_xor3_b32 v21, v21, v54, v45
	v_dual_lshrrev_b32 v45, 14, v53 :: v_dual_lshrrev_b32 v53, 22, v43
	v_lshrrev_b32_e32 v43, 6, v43
	s_delay_alu instid0(VALU_DEP_2) | instskip(NEXT) | instid1(VALU_DEP_3)
	v_and_b32_e32 v45, 0x3fc, v45
	v_and_b32_e32 v53, 0x3fc, v53
	global_load_b32 v53, v53, s[14:15]
	global_load_b32 v45, v45, s[12:13]
	v_and_b32_e32 v43, 0x3fc, v43
	s_wait_loadcnt 0x0
	v_xor_b32_e32 v45, v53, v45
	v_lshrrev_b32_e32 v53, 6, v57
	s_delay_alu instid0(VALU_DEP_1)
	v_and_b32_e32 v53, 0x3fc, v53
	global_load_b32 v41, v41, s[16:17] scale_offset
	global_load_b32 v53, v53, s[2:3]
	s_wait_loadcnt 0x0
	v_xor3_b32 v41, v45, v53, v41
	v_lshrrev_b32_e32 v45, 22, v57
	v_lshrrev_b32_e32 v53, 14, v61
	s_delay_alu instid0(VALU_DEP_2) | instskip(NEXT) | instid1(VALU_DEP_2)
	v_and_b32_e32 v45, 0x3fc, v45
	v_and_b32_e32 v53, 0x3fc, v53
	global_load_b32 v45, v45, s[14:15]
	global_load_b32 v53, v53, s[12:13]
	global_load_b32 v42, v42, s[16:17] scale_offset
	global_load_b32 v43, v43, s[2:3]
	s_wait_loadcnt 0x2
	s_wait_xcnt 0x3
	v_xor_b32_e32 v45, v45, v53
	v_bitop3_b32 v53, v35, 0xff, v24 bitop3:0x48
	s_wait_loadcnt 0x0
	s_delay_alu instid0(VALU_DEP_2) | instskip(SKIP_1) | instid1(VALU_DEP_1)
	v_xor3_b32 v42, v45, v43, v42
	v_dual_lshrrev_b32 v43, 14, v38 :: v_dual_lshrrev_b32 v45, 6, v38
	v_and_b32_e32 v43, 0x3fc, v43
	s_delay_alu instid0(VALU_DEP_2)
	v_and_b32_e32 v45, 0x3fc, v45
	global_load_b32 v43, v43, s[14:15]
	global_load_b32 v53, v53, s[2:3] scale_offset
	global_load_b32 v45, v45, s[12:13]
	global_load_b32 v27, v27, s[16:17] scale_offset
	s_wait_loadcnt 0x2
	s_wait_xcnt 0x2
	v_and_b32_e32 v53, 0xff, v53
	v_perm_b32 v43, v55, v43, 0x7020c0c
	s_wait_loadcnt 0x1
	s_wait_xcnt 0x1
	v_and_b32_e32 v45, 0xff00, v45
	s_wait_loadcnt 0x0
	v_xor3_b32 v27, v44, v27, v8
	v_xor_b32_e32 v44, v50, v35
	v_xor_b32_e32 v55, v52, v38
	v_bitop3_b32 v52, v52, 0xff, v38 bitop3:0x48
	v_or3_b32 v43, v43, v45, v53
	s_delay_alu instid0(VALU_DEP_4) | instskip(NEXT) | instid1(VALU_DEP_4)
	v_dual_lshrrev_b32 v45, 22, v44 :: v_dual_bitop2_b32 v53, v27, v35 bitop3:0x14
	v_lshrrev_b32_e32 v56, 6, v55
	v_bitop3_b32 v50, v50, 0xff, v35 bitop3:0x48
	v_bitop3_b32 v27, v27, 0xff, v35 bitop3:0x48
	s_delay_alu instid0(VALU_DEP_4) | instskip(SKIP_2) | instid1(VALU_DEP_3)
	v_lshrrev_b32_e32 v54, 14, v53
	v_and_b32_e32 v45, 0x3fc, v45
	v_and_b32_e32 v56, 0x3fc, v56
	v_and_b32_e32 v54, 0x3fc, v54
	global_load_b32 v45, v45, s[14:15]
	global_load_b32 v54, v54, s[12:13]
	global_load_b32 v56, v56, s[2:3]
	s_wait_loadcnt 0x0
	v_xor3_b32 v45, v45, v54, v56
	v_xor_b32_e32 v54, v23, v36
	v_bitop3_b32 v23, v23, 0xff, v36 bitop3:0x48
	s_delay_alu instid0(VALU_DEP_2) | instskip(SKIP_1) | instid1(VALU_DEP_2)
	v_dual_lshrrev_b32 v56, 22, v54 :: v_dual_lshrrev_b32 v57, 14, v44
	v_lshrrev_b32_e32 v44, 6, v44
	v_and_b32_e32 v56, 0x3fc, v56
	s_delay_alu instid0(VALU_DEP_3)
	v_and_b32_e32 v57, 0x3fc, v57
	global_load_b32 v56, v56, s[14:15]
	global_load_b32 v57, v57, s[12:13]
	v_and_b32_e32 v44, 0x3fc, v44
	s_wait_loadcnt 0x0
	v_dual_lshrrev_b32 v57, 6, v53 :: v_dual_bitop2_b32 v56, v57, v56 bitop3:0x14
	v_lshrrev_b32_e32 v53, 22, v53
	s_delay_alu instid0(VALU_DEP_2)
	v_and_b32_e32 v57, 0x3fc, v57
	global_load_b32 v52, v52, s[16:17] scale_offset
	global_load_b32 v57, v57, s[2:3]
	s_wait_loadcnt 0x0
	v_xor3_b32 v52, v56, v57, v52
	v_lshrrev_b32_e32 v56, 14, v55
	v_and_b32_e32 v53, 0x3fc, v53
	s_delay_alu instid0(VALU_DEP_2)
	v_and_b32_e32 v56, 0x3fc, v56
	global_load_b32 v53, v53, s[14:15]
	global_load_b32 v56, v56, s[12:13]
	s_wait_loadcnt 0x0
	v_dual_lshrrev_b32 v56, 6, v54 :: v_dual_bitop2_b32 v53, v53, v56 bitop3:0x14
	v_lshrrev_b32_e32 v54, 14, v54
	s_delay_alu instid0(VALU_DEP_2)
	v_and_b32_e32 v56, 0x3fc, v56
	global_load_b32 v50, v50, s[16:17] scale_offset
	global_load_b32 v56, v56, s[2:3]
	v_and_b32_e32 v54, 0x3fc, v54
	s_wait_loadcnt 0x0
	v_xor3_b32 v53, v53, v56, v50
	v_dual_lshrrev_b32 v50, 22, v55 :: v_dual_bitop2_b32 v55, v39, v38 bitop3:0x14
	v_bitop3_b32 v39, v39, 0xff, v38 bitop3:0x48
	s_delay_alu instid0(VALU_DEP_2)
	v_and_b32_e32 v50, 0x3fc, v50
	global_load_b32 v50, v50, s[14:15]
	global_load_b32 v54, v54, s[12:13]
	global_load_b32 v27, v27, s[16:17] scale_offset
	global_load_b32 v44, v44, s[2:3]
	v_lshrrev_b32_e32 v56, 6, v55
	s_delay_alu instid0(VALU_DEP_1) | instskip(SKIP_4) | instid1(VALU_DEP_1)
	v_and_b32_e32 v56, 0x3fc, v56
	s_wait_loadcnt 0x2
	s_wait_xcnt 0x3
	v_xor_b32_e32 v50, v50, v54
	s_wait_loadcnt 0x0
	v_xor3_b32 v44, v50, v44, v27
	v_bitop3_b32 v27, v30, 0xff, v25 bitop3:0x48
	global_load_b32 v27, v27, s[16:17] scale_offset
	s_wait_loadcnt 0x0
	v_xor3_b32 v27, v40, v27, v8
	s_delay_alu instid0(VALU_DEP_1) | instskip(SKIP_3) | instid1(VALU_DEP_4)
	v_xor_b32_e32 v50, v27, v35
	v_xor_b32_e32 v30, v28, v35
	v_bitop3_b32 v28, v28, 0xff, v35 bitop3:0x48
	v_bitop3_b32 v27, v27, 0xff, v35 bitop3:0x48
	v_lshrrev_b32_e32 v54, 14, v50
	s_delay_alu instid0(VALU_DEP_4) | instskip(SKIP_1) | instid1(VALU_DEP_3)
	v_dual_lshrrev_b32 v40, 22, v30 :: v_dual_lshrrev_b32 v63, 14, v30
	v_lshrrev_b32_e32 v30, 6, v30
	v_and_b32_e32 v54, 0x3fc, v54
	s_delay_alu instid0(VALU_DEP_3)
	v_and_b32_e32 v40, 0x3fc, v40
	global_load_b32 v40, v40, s[14:15]
	global_load_b32 v54, v54, s[12:13]
	;; [unrolled: 1-line block ×3, first 2 shown]
	global_load_b32 v37, v37, s[16:17] scale_offset
	v_and_b32_e32 v63, 0x3fc, v63
	v_and_b32_e32 v30, 0x3fc, v30
	s_wait_loadcnt 0x1
	s_wait_xcnt 0x1
	v_xor3_b32 v56, v40, v54, v56
	s_wait_loadcnt 0x0
	v_xor3_b32 v37, v58, v37, v8
	s_delay_alu instid0(VALU_DEP_1) | instskip(SKIP_1) | instid1(VALU_DEP_2)
	v_xor_b32_e32 v57, v37, v35
	v_bitop3_b32 v37, v37, 0xff, v35 bitop3:0x48
	v_dual_lshrrev_b32 v58, 14, v57 :: v_dual_bitop2_b32 v61, v42, v38 bitop3:0x14
	v_xor_b32_e32 v40, v41, v35
	v_bitop3_b32 v42, v42, 0xff, v38 bitop3:0x48
	v_bitop3_b32 v41, v41, 0xff, v35 bitop3:0x48
	s_delay_alu instid0(VALU_DEP_4) | instskip(NEXT) | instid1(VALU_DEP_4)
	v_and_b32_e32 v58, 0x3fc, v58
	v_dual_lshrrev_b32 v62, 6, v61 :: v_dual_lshrrev_b32 v54, 22, v40
	s_delay_alu instid0(VALU_DEP_1) | instskip(NEXT) | instid1(VALU_DEP_2)
	v_and_b32_e32 v62, 0x3fc, v62
	v_and_b32_e32 v54, 0x3fc, v54
	global_load_b32 v54, v54, s[14:15]
	global_load_b32 v58, v58, s[12:13]
	;; [unrolled: 1-line block ×3, first 2 shown]
	s_wait_loadcnt 0x0
	v_xor3_b32 v58, v54, v58, v62
	v_xor_b32_e32 v54, v29, v36
	v_bitop3_b32 v29, v29, 0xff, v36 bitop3:0x48
	s_delay_alu instid0(VALU_DEP_2) | instskip(NEXT) | instid1(VALU_DEP_1)
	v_lshrrev_b32_e32 v62, 22, v54
	v_and_b32_e32 v62, 0x3fc, v62
	global_load_b32 v62, v62, s[14:15]
	global_load_b32 v63, v63, s[12:13]
	s_wait_loadcnt 0x0
	v_dual_lshrrev_b32 v63, 6, v50 :: v_dual_bitop2_b32 v62, v62, v63 bitop3:0x14
	v_lshrrev_b32_e32 v50, 22, v50
	s_delay_alu instid0(VALU_DEP_2) | instskip(NEXT) | instid1(VALU_DEP_2)
	v_and_b32_e32 v63, 0x3fc, v63
	v_and_b32_e32 v50, 0x3fc, v50
	global_load_b32 v39, v39, s[16:17] scale_offset
	global_load_b32 v63, v63, s[2:3]
	s_wait_loadcnt 0x0
	v_xor3_b32 v39, v62, v63, v39
	v_lshrrev_b32_e32 v62, 14, v55
	s_delay_alu instid0(VALU_DEP_1)
	v_and_b32_e32 v62, 0x3fc, v62
	global_load_b32 v50, v50, s[14:15]
	global_load_b32 v62, v62, s[12:13]
	s_wait_loadcnt 0x0
	v_xor_b32_e32 v50, v50, v62
	v_lshrrev_b32_e32 v62, 6, v54
	s_delay_alu instid0(VALU_DEP_1)
	v_and_b32_e32 v62, 0x3fc, v62
	global_load_b32 v28, v28, s[16:17] scale_offset
	global_load_b32 v62, v62, s[2:3]
	s_wait_loadcnt 0x0
	v_xor3_b32 v62, v50, v62, v28
	v_dual_lshrrev_b32 v28, 22, v55 :: v_dual_lshrrev_b32 v50, 14, v54
	s_delay_alu instid0(VALU_DEP_1) | instskip(NEXT) | instid1(VALU_DEP_2)
	v_and_b32_e32 v28, 0x3fc, v28
	v_and_b32_e32 v50, 0x3fc, v50
	global_load_b32 v28, v28, s[14:15]
	global_load_b32 v50, v50, s[12:13]
	global_load_b32 v27, v27, s[16:17] scale_offset
	global_load_b32 v30, v30, s[2:3]
	s_wait_loadcnt 0x2
	s_wait_xcnt 0x2
	v_dual_lshrrev_b32 v50, 14, v40 :: v_dual_bitop2_b32 v28, v28, v50 bitop3:0x14
	s_wait_loadcnt 0x0
	s_delay_alu instid0(VALU_DEP_1) | instskip(SKIP_1) | instid1(VALU_DEP_3)
	v_xor3_b32 v30, v28, v30, v27
	v_xor_b32_e32 v27, v21, v36
	v_and_b32_e32 v50, 0x3fc, v50
	v_bitop3_b32 v21, v21, 0xff, v36 bitop3:0x48
	s_delay_alu instid0(VALU_DEP_3) | instskip(NEXT) | instid1(VALU_DEP_1)
	v_lshrrev_b32_e32 v28, 22, v27
	v_and_b32_e32 v28, 0x3fc, v28
	global_load_b32 v28, v28, s[14:15]
	global_load_b32 v50, v50, s[12:13]
	s_wait_loadcnt 0x0
	v_dual_lshrrev_b32 v50, 6, v57 :: v_dual_bitop2_b32 v28, v28, v50 bitop3:0x14
	s_delay_alu instid0(VALU_DEP_1)
	v_and_b32_e32 v50, 0x3fc, v50
	global_load_b32 v42, v42, s[16:17] scale_offset
	global_load_b32 v50, v50, s[2:3]
	s_wait_loadcnt 0x0
	v_xor3_b32 v55, v28, v50, v42
	v_lshrrev_b32_e32 v28, 22, v57
	v_lshrrev_b32_e32 v42, 14, v61
	v_xor_b32_e32 v50, v43, v49
	s_delay_alu instid0(VALU_DEP_3) | instskip(NEXT) | instid1(VALU_DEP_3)
	v_and_b32_e32 v28, 0x3fc, v28
	v_and_b32_e32 v42, 0x3fc, v42
	global_load_b32 v28, v28, s[14:15]
	global_load_b32 v42, v42, s[12:13]
	s_wait_loadcnt 0x0
	v_dual_lshrrev_b32 v42, 6, v27 :: v_dual_bitop2_b32 v28, v28, v42 bitop3:0x14
	v_lshrrev_b32_e32 v27, 14, v27
	s_delay_alu instid0(VALU_DEP_2) | instskip(NEXT) | instid1(VALU_DEP_2)
	v_and_b32_e32 v42, 0x3fc, v42
	v_and_b32_e32 v27, 0x3fc, v27
	global_load_b32 v41, v41, s[16:17] scale_offset
	global_load_b32 v42, v42, s[2:3]
	s_wait_loadcnt 0x0
	v_xor3_b32 v41, v28, v42, v41
	v_lshrrev_b32_e32 v28, 22, v61
	s_delay_alu instid0(VALU_DEP_1) | instskip(SKIP_4) | instid1(VALU_DEP_1)
	v_and_b32_e32 v28, 0x3fc, v28
	global_load_b32 v28, v28, s[14:15]
	global_load_b32 v27, v27, s[12:13]
	s_wait_loadcnt 0x0
	v_dual_lshrrev_b32 v28, 6, v40 :: v_dual_bitop2_b32 v27, v28, v27 bitop3:0x14
	v_and_b32_e32 v28, 0x3fc, v28
	global_load_b32 v37, v37, s[16:17] scale_offset
	global_load_b32 v28, v28, s[2:3]
	s_wait_loadcnt 0x0
	v_xor3_b32 v57, v27, v28, v37
	v_xor_b32_e32 v27, v50, v9
	s_delay_alu instid0(VALU_DEP_1) | instskip(NEXT) | instid1(VALU_DEP_1)
	v_xor_b32_e32 v54, v27, v46
	v_dual_lshrrev_b32 v28, 22, v54 :: v_dual_lshrrev_b32 v37, 14, v54
	v_bitop3_b32 v40, v27, 0xff, v46 bitop3:0x48
	s_delay_alu instid0(VALU_DEP_2) | instskip(NEXT) | instid1(VALU_DEP_3)
	v_and_b32_e32 v28, 0x3fc, v28
	v_and_b32_e32 v37, 0x3fc, v37
	global_load_b32 v28, v28, s[2:3]
	global_load_b32 v37, v37, s[16:17]
	s_wait_loadcnt 0x0
	v_perm_b32 v28, v37, v28, 0x70c0c00
	v_lshrrev_b32_e32 v37, 6, v54
	s_delay_alu instid0(VALU_DEP_1)
	v_and_b32_e32 v37, 0x3fc, v37
	global_load_b32 v40, v40, s[12:13] scale_offset
	global_load_b32 v37, v37, s[14:15]
	global_load_b32 v23, v23, s[16:17] scale_offset
	s_wait_loadcnt 0x2
	s_wait_xcnt 0x2
	v_and_b32_e32 v40, 0xff00, v40
	s_wait_loadcnt 0x1
	s_wait_xcnt 0x1
	v_and_b32_e32 v37, 0xff0000, v37
	s_wait_loadcnt 0x0
	v_xor3_b32 v23, v45, v23, v25
	s_delay_alu instid0(VALU_DEP_2) | instskip(SKIP_1) | instid1(VALU_DEP_3)
	v_or3_b32 v37, v28, v37, v40
	v_xor_b32_e32 v40, v52, v50
	v_xor_b32_e32 v42, v23, v50
	v_bitop3_b32 v52, v52, 0xff, v50 bitop3:0x48
	v_bitop3_b32 v23, v23, 0xff, v50 bitop3:0x48
	s_delay_alu instid0(VALU_DEP_4) | instskip(NEXT) | instid1(VALU_DEP_4)
	v_dual_lshrrev_b32 v28, 22, v40 :: v_dual_bitop2_b32 v7, v37, v7 bitop3:0x14
	v_lshrrev_b32_e32 v43, 14, v42
	v_bitop3_b32 v61, v44, 0xff, v54 bitop3:0x48
	v_xor_b32_e32 v44, v44, v54
	v_bitop3_b32 v64, v30, 0xff, v54 bitop3:0x48
	v_and_b32_e32 v28, 0x3fc, v28
	v_and_b32_e32 v43, 0x3fc, v43
	global_load_b32 v28, v28, s[14:15]
	global_load_b32 v43, v43, s[12:13]
	s_wait_loadcnt 0x0
	v_xor_b32_e32 v28, v43, v28
	v_xor_b32_e32 v43, v53, v27
	s_delay_alu instid0(VALU_DEP_1) | instskip(NEXT) | instid1(VALU_DEP_1)
	v_dual_lshrrev_b32 v45, 6, v43 :: v_dual_lshrrev_b32 v37, 14, v40
	v_and_b32_e32 v45, 0x3fc, v45
	global_load_b32 v61, v61, s[16:17] scale_offset
	global_load_b32 v45, v45, s[2:3]
	v_and_b32_e32 v37, 0x3fc, v37
	s_wait_loadcnt 0x0
	v_xor3_b32 v45, v28, v45, v61
	v_dual_lshrrev_b32 v61, 14, v43 :: v_dual_lshrrev_b32 v28, 22, v42
	s_delay_alu instid0(VALU_DEP_1) | instskip(NEXT) | instid1(VALU_DEP_2)
	v_and_b32_e32 v61, 0x3fc, v61
	v_and_b32_e32 v28, 0x3fc, v28
	global_load_b32 v28, v28, s[14:15]
	global_load_b32 v61, v61, s[12:13]
	s_wait_loadcnt 0x0
	v_dual_lshrrev_b32 v61, 6, v44 :: v_dual_bitop2_b32 v28, v28, v61 bitop3:0x14
	v_lshrrev_b32_e32 v43, 22, v43
	s_delay_alu instid0(VALU_DEP_2)
	v_and_b32_e32 v61, 0x3fc, v61
	global_load_b32 v52, v52, s[16:17] scale_offset
	global_load_b32 v61, v61, s[2:3]
	v_and_b32_e32 v43, 0x3fc, v43
	s_wait_loadcnt 0x0
	v_xor3_b32 v28, v28, v61, v52
	v_lshrrev_b32_e32 v52, 14, v44
	s_delay_alu instid0(VALU_DEP_1)
	v_and_b32_e32 v52, 0x3fc, v52
	global_load_b32 v43, v43, s[14:15]
	global_load_b32 v52, v52, s[12:13]
	s_wait_loadcnt 0x0
	v_xor_b32_e32 v43, v43, v52
	v_lshrrev_b32_e32 v52, 6, v40
	v_xor_b32_e32 v40, 0xf000000, v7
	s_delay_alu instid0(VALU_DEP_2)
	v_and_b32_e32 v52, 0x3fc, v52
	global_load_b32 v23, v23, s[16:17] scale_offset
	global_load_b32 v52, v52, s[2:3]
	s_wait_loadcnt 0x0
	v_xor3_b32 v43, v43, v52, v23
	v_lshrrev_b32_e32 v23, 22, v44
	s_delay_alu instid0(VALU_DEP_1)
	v_and_b32_e32 v23, 0x3fc, v23
	global_load_b32 v23, v23, s[14:15]
	global_load_b32 v37, v37, s[12:13]
	s_wait_loadcnt 0x0
	v_dual_lshrrev_b32 v23, 6, v42 :: v_dual_bitop2_b32 v44, v23, v37 bitop3:0x14
	v_bitop3_b32 v37, v53, 0xff, v27 bitop3:0x48
	s_delay_alu instid0(VALU_DEP_2)
	v_and_b32_e32 v23, 0x3fc, v23
	global_load_b32 v52, v37, s[16:17] scale_offset
	global_load_b32 v53, v23, s[2:3]
	global_load_b32 v29, v29, s[16:17] scale_offset
	s_wait_loadcnt 0x1
	v_xor3_b32 v52, v44, v53, v52
	v_xor_b32_e32 v53, v39, v50
	v_xor_b32_e32 v23, v40, v8
	;; [unrolled: 1-line block ×3, first 2 shown]
	v_bitop3_b32 v39, v39, 0xff, v50 bitop3:0x48
	s_wait_loadcnt 0x0
	v_xor3_b32 v44, v56, v29, v25
	v_dual_lshrrev_b32 v29, 22, v53 :: v_dual_bitop2_b32 v42, v23, v38 bitop3:0x14
	s_delay_alu instid0(VALU_DEP_2) | instskip(NEXT) | instid1(VALU_DEP_2)
	v_xor_b32_e32 v56, v44, v50
	v_and_b32_e32 v29, 0x3fc, v29
	s_delay_alu instid0(VALU_DEP_3) | instskip(SKIP_1) | instid1(VALU_DEP_4)
	v_lshrrev_b32_e32 v37, 22, v42
	v_bitop3_b32 v44, v44, 0xff, v50 bitop3:0x48
	v_lshrrev_b32_e32 v61, 14, v56
	s_delay_alu instid0(VALU_DEP_3) | instskip(NEXT) | instid1(VALU_DEP_2)
	v_and_b32_e32 v37, 0x3fc, v37
	v_and_b32_e32 v61, 0x3fc, v61
	global_load_b32 v37, v37, s[16:17]
	global_load_b32 v29, v29, s[14:15]
	;; [unrolled: 1-line block ×3, first 2 shown]
	s_wait_loadcnt 0x0
	v_xor_b32_e32 v29, v29, v61
	v_xor_b32_e32 v61, v62, v27
	s_delay_alu instid0(VALU_DEP_1) | instskip(NEXT) | instid1(VALU_DEP_1)
	v_lshrrev_b32_e32 v63, 6, v61
	v_and_b32_e32 v63, 0x3fc, v63
	global_load_b32 v64, v64, s[16:17] scale_offset
	global_load_b32 v63, v63, s[2:3]
	s_wait_loadcnt 0x0
	v_xor3_b32 v63, v29, v63, v64
	v_dual_lshrrev_b32 v64, 14, v61 :: v_dual_lshrrev_b32 v29, 22, v56
	s_delay_alu instid0(VALU_DEP_1) | instskip(NEXT) | instid1(VALU_DEP_2)
	v_and_b32_e32 v64, 0x3fc, v64
	v_and_b32_e32 v29, 0x3fc, v29
	global_load_b32 v29, v29, s[14:15]
	global_load_b32 v64, v64, s[12:13]
	s_wait_loadcnt 0x0
	v_dual_lshrrev_b32 v64, 6, v30 :: v_dual_bitop2_b32 v29, v29, v64 bitop3:0x14
	s_delay_alu instid0(VALU_DEP_1)
	v_and_b32_e32 v64, 0x3fc, v64
	global_load_b32 v39, v39, s[16:17] scale_offset
	global_load_b32 v64, v64, s[2:3]
	s_wait_loadcnt 0x0
	v_xor3_b32 v29, v29, v64, v39
	v_dual_lshrrev_b32 v39, 22, v61 :: v_dual_lshrrev_b32 v61, 14, v30
	s_delay_alu instid0(VALU_DEP_1) | instskip(NEXT) | instid1(VALU_DEP_2)
	v_and_b32_e32 v39, 0x3fc, v39
	v_and_b32_e32 v61, 0x3fc, v61
	global_load_b32 v39, v39, s[14:15]
	global_load_b32 v61, v61, s[12:13]
	s_wait_loadcnt 0x0
	v_xor_b32_e32 v39, v39, v61
	v_dual_lshrrev_b32 v61, 6, v53 :: v_dual_lshrrev_b32 v30, 22, v30
	s_delay_alu instid0(VALU_DEP_1) | instskip(NEXT) | instid1(VALU_DEP_2)
	v_and_b32_e32 v61, 0x3fc, v61
	v_and_b32_e32 v30, 0x3fc, v30
	global_load_b32 v44, v44, s[16:17] scale_offset
	global_load_b32 v61, v61, s[2:3]
	s_wait_loadcnt 0x0
	v_xor3_b32 v39, v39, v61, v44
	v_lshrrev_b32_e32 v44, 14, v53
	v_bitop3_b32 v53, v62, 0xff, v27 bitop3:0x48
	v_bitop3_b32 v62, v57, 0xff, v54 bitop3:0x48
	v_xor_b32_e32 v57, v57, v54
	s_delay_alu instid0(VALU_DEP_4)
	v_and_b32_e32 v44, 0x3fc, v44
	global_load_b32 v30, v30, s[14:15]
	global_load_b32 v44, v44, s[12:13]
	s_wait_loadcnt 0x0
	v_xor_b32_e32 v30, v30, v44
	v_lshrrev_b32_e32 v44, 6, v56
	s_delay_alu instid0(VALU_DEP_1)
	v_and_b32_e32 v44, 0x3fc, v44
	global_load_b32 v53, v53, s[16:17] scale_offset
	global_load_b32 v44, v44, s[2:3]
	global_load_b32 v21, v21, s[16:17] scale_offset
	s_wait_loadcnt 0x1
	s_wait_xcnt 0x2
	v_xor3_b32 v53, v30, v44, v53
	s_wait_loadcnt 0x0
	v_xor3_b32 v21, v58, v21, v25
	v_xor_b32_e32 v30, v55, v50
	v_bitop3_b32 v55, v55, 0xff, v50 bitop3:0x48
	s_delay_alu instid0(VALU_DEP_3) | instskip(NEXT) | instid1(VALU_DEP_3)
	v_xor_b32_e32 v56, v21, v50
	v_lshrrev_b32_e32 v44, 22, v30
	v_bitop3_b32 v21, v21, 0xff, v50 bitop3:0x48
	s_delay_alu instid0(VALU_DEP_3) | instskip(NEXT) | instid1(VALU_DEP_3)
	v_lshrrev_b32_e32 v58, 14, v56
	v_and_b32_e32 v44, 0x3fc, v44
	s_delay_alu instid0(VALU_DEP_2)
	v_and_b32_e32 v58, 0x3fc, v58
	global_load_b32 v44, v44, s[14:15]
	global_load_b32 v58, v58, s[12:13]
	s_wait_loadcnt 0x0
	v_xor_b32_e32 v44, v44, v58
	v_xor_b32_e32 v58, v41, v27
	v_bitop3_b32 v41, v41, 0xff, v27 bitop3:0x48
	s_delay_alu instid0(VALU_DEP_2) | instskip(NEXT) | instid1(VALU_DEP_1)
	v_lshrrev_b32_e32 v61, 6, v58
	v_and_b32_e32 v61, 0x3fc, v61
	global_load_b32 v62, v62, s[16:17] scale_offset
	global_load_b32 v61, v61, s[2:3]
	s_wait_loadcnt 0x0
	v_xor3_b32 v61, v44, v61, v62
	v_dual_lshrrev_b32 v44, 22, v56 :: v_dual_lshrrev_b32 v62, 14, v58
	s_delay_alu instid0(VALU_DEP_2) | instskip(NEXT) | instid1(VALU_DEP_2)
	v_xor_b32_e32 v68, v61, v40
	v_and_b32_e32 v44, 0x3fc, v44
	s_delay_alu instid0(VALU_DEP_3) | instskip(SKIP_3) | instid1(VALU_DEP_1)
	v_and_b32_e32 v62, 0x3fc, v62
	global_load_b32 v44, v44, s[14:15]
	global_load_b32 v62, v62, s[12:13]
	v_lshrrev_b32_e32 v73, 6, v68
	v_and_b32_e32 v73, 0x3fc, v73
	s_wait_loadcnt 0x0
	v_dual_lshrrev_b32 v62, 6, v57 :: v_dual_bitop2_b32 v44, v44, v62 bitop3:0x14
	s_delay_alu instid0(VALU_DEP_1)
	v_and_b32_e32 v62, 0x3fc, v62
	global_load_b32 v55, v55, s[16:17] scale_offset
	global_load_b32 v62, v62, s[2:3]
	s_wait_loadcnt 0x0
	v_xor3_b32 v44, v44, v62, v55
	v_dual_lshrrev_b32 v55, 22, v58 :: v_dual_lshrrev_b32 v58, 14, v57
	s_delay_alu instid0(VALU_DEP_1) | instskip(NEXT) | instid1(VALU_DEP_2)
	v_and_b32_e32 v55, 0x3fc, v55
	v_and_b32_e32 v58, 0x3fc, v58
	global_load_b32 v55, v55, s[14:15]
	global_load_b32 v58, v58, s[12:13]
	s_wait_loadcnt 0x0
	v_xor_b32_e32 v55, v55, v58
	v_dual_lshrrev_b32 v58, 6, v30 :: v_dual_lshrrev_b32 v30, 14, v30
	s_delay_alu instid0(VALU_DEP_1)
	v_and_b32_e32 v58, 0x3fc, v58
	global_load_b32 v21, v21, s[16:17] scale_offset
	global_load_b32 v58, v58, s[2:3]
	s_wait_loadcnt 0x0
	v_xor3_b32 v21, v55, v58, v21
	v_dual_lshrrev_b32 v55, 22, v57 :: v_dual_bitop2_b32 v58, v45, v40 bitop3:0x14
	v_and_b32_e32 v30, 0x3fc, v30
	v_bitop3_b32 v45, v45, 0xff, v40 bitop3:0x48
	s_delay_alu instid0(VALU_DEP_3) | instskip(SKIP_3) | instid1(VALU_DEP_1)
	v_and_b32_e32 v55, 0x3fc, v55
	global_load_b32 v55, v55, s[14:15]
	global_load_b32 v30, v30, s[12:13]
	v_lshrrev_b32_e32 v62, 6, v58
	v_and_b32_e32 v62, 0x3fc, v62
	s_wait_loadcnt 0x0
	v_dual_lshrrev_b32 v55, 6, v56 :: v_dual_bitop2_b32 v30, v55, v30 bitop3:0x14
	v_xor_b32_e32 v56, v52, v42
	v_bitop3_b32 v52, v52, 0xff, v42 bitop3:0x48
	s_delay_alu instid0(VALU_DEP_3) | instskip(SKIP_3) | instid1(VALU_DEP_1)
	v_and_b32_e32 v55, 0x3fc, v55
	global_load_b32 v41, v41, s[16:17] scale_offset
	global_load_b32 v55, v55, s[2:3]
	v_lshrrev_b32_e32 v57, 14, v56
	v_and_b32_e32 v57, 0x3fc, v57
	s_wait_loadcnt 0x0
	v_xor3_b32 v41, v30, v55, v41
	v_xor_b32_e32 v30, v43, v23
	v_bitop3_b32 v43, v43, 0xff, v23 bitop3:0x48
	s_delay_alu instid0(VALU_DEP_3) | instskip(NEXT) | instid1(VALU_DEP_3)
	v_xor_b32_e32 v66, v41, v42
	v_lshrrev_b32_e32 v55, 22, v30
	v_bitop3_b32 v41, v41, 0xff, v42 bitop3:0x48
	s_delay_alu instid0(VALU_DEP_3) | instskip(NEXT) | instid1(VALU_DEP_3)
	v_lshrrev_b32_e32 v67, 14, v66
	v_and_b32_e32 v55, 0x3fc, v55
	global_load_b32 v55, v55, s[14:15]
	global_load_b32 v57, v57, s[12:13]
	;; [unrolled: 1-line block ×3, first 2 shown]
	v_and_b32_e32 v67, 0x3fc, v67
	s_wait_loadcnt 0x0
	v_xor3_b32 v57, v55, v57, v62
	v_lshrrev_b32_e32 v55, 22, v58
	s_delay_alu instid0(VALU_DEP_1) | instskip(SKIP_1) | instid1(VALU_DEP_1)
	v_and_b32_e32 v62, 0x3fc, v55
	v_xor_b32_e32 v55, v40, v35
	v_xor_b32_e32 v64, v28, v55
	s_delay_alu instid0(VALU_DEP_1) | instskip(NEXT) | instid1(VALU_DEP_1)
	v_lshrrev_b32_e32 v65, 14, v64
	v_and_b32_e32 v65, 0x3fc, v65
	global_load_b32 v62, v62, s[14:15]
	global_load_b32 v65, v65, s[12:13]
	s_wait_loadcnt 0x0
	v_xor_b32_e32 v62, v65, v62
	v_dual_lshrrev_b32 v65, 6, v30 :: v_dual_lshrrev_b32 v30, 14, v30
	v_bitop3_b32 v28, v28, 0xff, v55 bitop3:0x48
	s_delay_alu instid0(VALU_DEP_2)
	v_and_b32_e32 v65, 0x3fc, v65
	global_load_b32 v52, v52, s[16:17] scale_offset
	global_load_b32 v65, v65, s[2:3]
	v_and_b32_e32 v30, 0x3fc, v30
	s_wait_loadcnt 0x0
	v_xor3_b32 v62, v62, v65, v52
	v_lshrrev_b32_e32 v52, 22, v64
	s_delay_alu instid0(VALU_DEP_1) | instskip(SKIP_4) | instid1(VALU_DEP_1)
	v_and_b32_e32 v52, 0x3fc, v52
	global_load_b32 v52, v52, s[14:15]
	global_load_b32 v30, v30, s[12:13]
	s_wait_loadcnt 0x0
	v_dual_lshrrev_b32 v52, 6, v56 :: v_dual_bitop2_b32 v30, v52, v30 bitop3:0x14
	v_and_b32_e32 v52, 0x3fc, v52
	global_load_b32 v45, v45, s[16:17] scale_offset
	global_load_b32 v52, v52, s[2:3]
	s_wait_loadcnt 0x0
	v_xor3_b32 v30, v30, v52, v45
	v_dual_lshrrev_b32 v45, 22, v56 :: v_dual_lshrrev_b32 v52, 14, v58
	s_delay_alu instid0(VALU_DEP_1) | instskip(NEXT) | instid1(VALU_DEP_2)
	v_and_b32_e32 v45, 0x3fc, v45
	v_and_b32_e32 v52, 0x3fc, v52
	global_load_b32 v45, v45, s[14:15]
	global_load_b32 v52, v52, s[12:13]
	s_wait_loadcnt 0x0
	v_xor_b32_e32 v45, v45, v52
	v_lshrrev_b32_e32 v52, 6, v64
	v_xor_b32_e32 v64, v63, v40
	v_xor_b32_e32 v56, v53, v42
	v_bitop3_b32 v53, v53, 0xff, v42 bitop3:0x48
	s_delay_alu instid0(VALU_DEP_4) | instskip(NEXT) | instid1(VALU_DEP_4)
	v_and_b32_e32 v52, 0x3fc, v52
	v_lshrrev_b32_e32 v65, 6, v64
	s_delay_alu instid0(VALU_DEP_4)
	v_lshrrev_b32_e32 v58, 14, v56
	global_load_b32 v43, v43, s[16:17] scale_offset
	global_load_b32 v52, v52, s[2:3]
	v_and_b32_e32 v65, 0x3fc, v65
	v_and_b32_e32 v58, 0x3fc, v58
	s_wait_loadcnt 0x0
	v_xor3_b32 v45, v45, v52, v43
	v_xor_b32_e32 v43, v39, v23
	v_bitop3_b32 v39, v39, 0xff, v23 bitop3:0x48
	s_delay_alu instid0(VALU_DEP_2) | instskip(NEXT) | instid1(VALU_DEP_1)
	v_lshrrev_b32_e32 v52, 22, v43
	v_and_b32_e32 v52, 0x3fc, v52
	global_load_b32 v52, v52, s[14:15]
	global_load_b32 v58, v58, s[12:13]
	;; [unrolled: 1-line block ×3, first 2 shown]
	s_wait_loadcnt 0x0
	v_xor3_b32 v58, v52, v58, v65
	v_xor_b32_e32 v52, v21, v23
	v_bitop3_b32 v21, v21, 0xff, v23 bitop3:0x48
	s_delay_alu instid0(VALU_DEP_2) | instskip(NEXT) | instid1(VALU_DEP_1)
	v_lshrrev_b32_e32 v65, 22, v52
	v_and_b32_e32 v65, 0x3fc, v65
	global_load_b32 v65, v65, s[14:15]
	global_load_b32 v67, v67, s[12:13]
	;; [unrolled: 1-line block ×3, first 2 shown]
	s_wait_loadcnt 0x0
	v_xor3_b32 v65, v65, v67, v73
	v_dual_lshrrev_b32 v67, 22, v64 :: v_dual_bitop2_b32 v73, v29, v55 bitop3:0x14
	v_bitop3_b32 v29, v29, 0xff, v55 bitop3:0x48
	s_delay_alu instid0(VALU_DEP_2) | instskip(NEXT) | instid1(VALU_DEP_3)
	v_lshrrev_b32_e32 v74, 14, v73
	v_and_b32_e32 v67, 0x3fc, v67
	s_delay_alu instid0(VALU_DEP_2)
	v_and_b32_e32 v74, 0x3fc, v74
	global_load_b32 v67, v67, s[14:15]
	global_load_b32 v74, v74, s[12:13]
	s_wait_loadcnt 0x0
	v_dual_lshrrev_b32 v74, 6, v43 :: v_dual_bitop2_b32 v67, v67, v74 bitop3:0x14
	v_lshrrev_b32_e32 v43, 14, v43
	s_delay_alu instid0(VALU_DEP_2) | instskip(NEXT) | instid1(VALU_DEP_2)
	v_and_b32_e32 v74, 0x3fc, v74
	v_and_b32_e32 v43, 0x3fc, v43
	global_load_b32 v53, v53, s[16:17] scale_offset
	global_load_b32 v74, v74, s[2:3]
	s_wait_loadcnt 0x0
	v_xor3_b32 v67, v67, v74, v53
	v_lshrrev_b32_e32 v53, 22, v73
	s_delay_alu instid0(VALU_DEP_1)
	v_and_b32_e32 v53, 0x3fc, v53
	global_load_b32 v53, v53, s[14:15]
	global_load_b32 v43, v43, s[12:13]
	s_wait_loadcnt 0x0
	v_xor_b32_e32 v43, v53, v43
	v_bitop3_b32 v53, v63, 0xff, v40 bitop3:0x48
	v_lshrrev_b32_e32 v63, 6, v56
	s_delay_alu instid0(VALU_DEP_1)
	v_and_b32_e32 v63, 0x3fc, v63
	global_load_b32 v53, v53, s[16:17] scale_offset
	global_load_b32 v63, v63, s[2:3]
	s_wait_loadcnt 0x0
	v_xor3_b32 v43, v43, v63, v53
	v_lshrrev_b32_e32 v53, 22, v56
	v_lshrrev_b32_e32 v56, 14, v64
	s_delay_alu instid0(VALU_DEP_2) | instskip(NEXT) | instid1(VALU_DEP_2)
	v_and_b32_e32 v53, 0x3fc, v53
	v_and_b32_e32 v56, 0x3fc, v56
	global_load_b32 v53, v53, s[14:15]
	global_load_b32 v56, v56, s[12:13]
	s_wait_loadcnt 0x0
	v_dual_lshrrev_b32 v56, 6, v73 :: v_dual_bitop2_b32 v53, v53, v56 bitop3:0x14
	s_delay_alu instid0(VALU_DEP_1)
	v_and_b32_e32 v56, 0x3fc, v56
	global_load_b32 v39, v39, s[16:17] scale_offset
	global_load_b32 v56, v56, s[2:3]
	s_wait_loadcnt 0x0
	v_xor3_b32 v63, v53, v56, v39
	v_dual_lshrrev_b32 v39, 22, v68 :: v_dual_bitop2_b32 v56, v44, v55 bitop3:0x14
	v_bitop3_b32 v44, v44, 0xff, v55 bitop3:0x48
	s_delay_alu instid0(VALU_DEP_2) | instskip(NEXT) | instid1(VALU_DEP_3)
	v_and_b32_e32 v39, 0x3fc, v39
	v_lshrrev_b32_e32 v53, 14, v56
	s_delay_alu instid0(VALU_DEP_1) | instskip(SKIP_4) | instid1(VALU_DEP_1)
	v_and_b32_e32 v53, 0x3fc, v53
	global_load_b32 v39, v39, s[14:15]
	global_load_b32 v53, v53, s[12:13]
	s_wait_loadcnt 0x0
	v_dual_lshrrev_b32 v53, 6, v52 :: v_dual_bitop2_b32 v39, v39, v53 bitop3:0x14
	v_and_b32_e32 v53, 0x3fc, v53
	global_load_b32 v41, v41, s[16:17] scale_offset
	global_load_b32 v53, v53, s[2:3]
	s_wait_loadcnt 0x0
	v_xor3_b32 v64, v39, v53, v41
	v_lshrrev_b32_e32 v41, 22, v56
	v_dual_lshrrev_b32 v39, 14, v52 :: v_dual_lshrrev_b32 v52, 6, v66
	s_delay_alu instid0(VALU_DEP_2) | instskip(NEXT) | instid1(VALU_DEP_2)
	v_and_b32_e32 v41, 0x3fc, v41
	v_and_b32_e32 v39, 0x3fc, v39
	global_load_b32 v41, v41, s[14:15]
	global_load_b32 v39, v39, s[12:13]
	v_and_b32_e32 v52, 0x3fc, v52
	s_wait_loadcnt 0x0
	v_xor_b32_e32 v39, v41, v39
	v_bitop3_b32 v41, v61, 0xff, v40 bitop3:0x48
	global_load_b32 v41, v41, s[16:17] scale_offset
	global_load_b32 v52, v52, s[2:3]
	s_wait_loadcnt 0x0
	v_xor3_b32 v53, v39, v52, v41
	v_dual_lshrrev_b32 v39, 22, v66 :: v_dual_lshrrev_b32 v41, 14, v68
	s_delay_alu instid0(VALU_DEP_1) | instskip(NEXT) | instid1(VALU_DEP_2)
	v_and_b32_e32 v39, 0x3fc, v39
	v_and_b32_e32 v41, 0x3fc, v41
	global_load_b32 v39, v39, s[14:15]
	global_load_b32 v41, v41, s[12:13]
	s_wait_loadcnt 0x0
	v_dual_lshrrev_b32 v41, 6, v56 :: v_dual_bitop2_b32 v39, v39, v41 bitop3:0x14
	s_delay_alu instid0(VALU_DEP_1)
	v_and_b32_e32 v41, 0x3fc, v41
	global_load_b32 v21, v21, s[16:17] scale_offset
	global_load_b32 v41, v41, s[2:3]
	s_wait_loadcnt 0x0
	v_xor3_b32 v61, v39, v41, v21
	v_lshrrev_b32_e32 v21, 14, v42
	s_delay_alu instid0(VALU_DEP_1) | instskip(SKIP_4) | instid1(VALU_DEP_1)
	v_and_b32_e32 v21, 0x3fc, v21
	global_load_b32 v21, v21, s[14:15]
	s_wait_loadcnt 0x0
	v_perm_b32 v21, v37, v21, 0x7020c0c
	v_lshrrev_b32_e32 v37, 6, v42
	v_and_b32_e32 v37, 0x3fc, v37
	global_load_b32 v37, v37, s[12:13]
	s_wait_loadcnt 0x0
	v_and_or_b32 v21, 0xff00, v37, v21
	v_bitop3_b32 v37, v23, 0xff, v38 bitop3:0x48
	global_load_b32 v37, v37, s[2:3] scale_offset
	s_wait_loadcnt 0x0
	v_and_b32_e32 v37, 0xff, v37
	s_delay_alu instid0(VALU_DEP_1) | instskip(NEXT) | instid1(VALU_DEP_1)
	v_bitop3_b32 v52, v21, v12, v37 bitop3:0x36
	v_dual_lshrrev_b32 v37, 22, v52 :: v_dual_bitop2_b32 v21, v21, v37 bitop3:0x54
	v_lshrrev_b32_e32 v39, 14, v52
	s_delay_alu instid0(VALU_DEP_2)
	v_bitop3_b32 v41, v21, 0xff, v12 bitop3:0x48
	v_xor_b32_e32 v81, v61, v52
	v_bitop3_b32 v61, v61, 0xff, v52 bitop3:0x48
	v_and_b32_e32 v37, 0x3fc, v37
	v_and_b32_e32 v39, 0x3fc, v39
	global_load_b32 v37, v37, s[2:3]
	global_load_b32 v39, v39, s[16:17]
	v_xor_b32_e32 v56, v21, v50
	s_delay_alu instid0(VALU_DEP_1) | instskip(NEXT) | instid1(VALU_DEP_1)
	v_xor_b32_e32 v79, v67, v56
	v_dual_lshrrev_b32 v80, 6, v79 :: v_dual_bitop2_b32 v68, v62, v56 bitop3:0x14
	s_delay_alu instid0(VALU_DEP_1) | instskip(NEXT) | instid1(VALU_DEP_2)
	v_lshrrev_b32_e32 v73, 6, v68
	v_and_b32_e32 v80, 0x3fc, v80
	s_delay_alu instid0(VALU_DEP_2) | instskip(SKIP_3) | instid1(VALU_DEP_1)
	v_and_b32_e32 v73, 0x3fc, v73
	s_wait_loadcnt 0x0
	v_perm_b32 v37, v39, v37, 0x70c0c00
	v_lshrrev_b32_e32 v39, 6, v52
	v_and_b32_e32 v39, 0x3fc, v39
	global_load_b32 v41, v41, s[12:13] scale_offset
	global_load_b32 v39, v39, s[14:15]
	global_load_b32 v28, v28, s[16:17] scale_offset
	s_wait_loadcnt 0x2
	s_wait_xcnt 0x2
	v_and_b32_e32 v41, 0xff00, v41
	s_wait_loadcnt 0x1
	s_wait_xcnt 0x1
	v_and_b32_e32 v39, 0xff0000, v39
	s_delay_alu instid0(VALU_DEP_1)
	v_or3_b32 v37, v37, v39, v41
	s_wait_loadcnt 0x0
	v_xor3_b32 v39, v57, v28, v27
	v_xor_b32_e32 v28, v21, v25
	v_xor_b32_e32 v57, v45, v52
	v_bitop3_b32 v45, v45, 0xff, v52 bitop3:0x48
	s_delay_alu instid0(VALU_DEP_2) | instskip(NEXT) | instid1(VALU_DEP_1)
	v_dual_lshrrev_b32 v66, 14, v57 :: v_dual_bitop2_b32 v21, v39, v28 bitop3:0x14
	v_lshrrev_b32_e32 v41, 22, v21
	s_delay_alu instid0(VALU_DEP_2) | instskip(NEXT) | instid1(VALU_DEP_2)
	v_and_b32_e32 v66, 0x3fc, v66
	v_and_b32_e32 v41, 0x3fc, v41
	global_load_b32 v41, v41, s[14:15]
	global_load_b32 v66, v66, s[12:13]
	global_load_b32 v73, v73, s[2:3]
	s_wait_loadcnt 0x0
	v_xor3_b32 v66, v41, v66, v73
	v_xor_b32_e32 v73, v30, v28
	v_lshrrev_b32_e32 v41, 22, v68
	v_bitop3_b32 v30, v30, 0xff, v28 bitop3:0x48
	s_delay_alu instid0(VALU_DEP_3) | instskip(NEXT) | instid1(VALU_DEP_3)
	v_lshrrev_b32_e32 v74, 14, v73
	v_and_b32_e32 v41, 0x3fc, v41
	s_delay_alu instid0(VALU_DEP_2)
	v_and_b32_e32 v74, 0x3fc, v74
	global_load_b32 v41, v41, s[14:15]
	global_load_b32 v74, v74, s[12:13]
	s_wait_loadcnt 0x0
	v_xor_b32_e32 v41, v74, v41
	v_dual_lshrrev_b32 v74, 6, v21 :: v_dual_lshrrev_b32 v21, 14, v21
	s_delay_alu instid0(VALU_DEP_1)
	v_and_b32_e32 v74, 0x3fc, v74
	global_load_b32 v45, v45, s[16:17] scale_offset
	global_load_b32 v74, v74, s[2:3]
	v_and_b32_e32 v21, 0x3fc, v21
	s_wait_loadcnt 0x0
	v_xor3_b32 v41, v41, v74, v45
	v_lshrrev_b32_e32 v45, 22, v73
	s_delay_alu instid0(VALU_DEP_1)
	v_and_b32_e32 v45, 0x3fc, v45
	global_load_b32 v45, v45, s[14:15]
	global_load_b32 v21, v21, s[12:13]
	s_wait_loadcnt 0x0
	v_xor_b32_e32 v21, v45, v21
	v_bitop3_b32 v45, v62, 0xff, v56 bitop3:0x48
	v_lshrrev_b32_e32 v62, 6, v57
	s_delay_alu instid0(VALU_DEP_1)
	v_and_b32_e32 v62, 0x3fc, v62
	global_load_b32 v45, v45, s[16:17] scale_offset
	global_load_b32 v62, v62, s[2:3]
	s_wait_loadcnt 0x0
	v_xor3_b32 v62, v21, v62, v45
	v_dual_lshrrev_b32 v7, 22, v57 :: v_dual_bitop2_b32 v21, v37, v7 bitop3:0x14
	v_lshrrev_b32_e32 v37, 14, v68
	s_delay_alu instid0(VALU_DEP_2) | instskip(NEXT) | instid1(VALU_DEP_2)
	v_and_b32_e32 v7, 0x3fc, v7
	v_and_b32_e32 v37, 0x3fc, v37
	global_load_b32 v7, v7, s[14:15]
	global_load_b32 v37, v37, s[12:13]
	s_wait_loadcnt 0x0
	v_xor_b32_e32 v45, v7, v37
	v_lshrrev_b32_e32 v7, 6, v73
	v_bitop3_b32 v37, v39, 0xff, v28 bitop3:0x48
	v_xor_b32_e32 v39, 0x1f000000, v21
	s_delay_alu instid0(VALU_DEP_3)
	v_and_b32_e32 v7, 0x3fc, v7
	global_load_b32 v57, v37, s[16:17] scale_offset
	global_load_b32 v68, v7, s[2:3]
	s_wait_xcnt 0x1
	v_xor_b32_e32 v37, v39, v55
	global_load_b32 v29, v29, s[16:17] scale_offset
	s_wait_xcnt 0x1
	v_xor_b32_e32 v7, v37, v38
	s_delay_alu instid0(VALU_DEP_1) | instskip(NEXT) | instid1(VALU_DEP_1)
	v_lshrrev_b32_e32 v73, 22, v7
	v_and_b32_e32 v73, 0x3fc, v73
	global_load_b32 v73, v73, s[16:17]
	s_wait_loadcnt 0x2
	v_xor3_b32 v57, v45, v68, v57
	v_xor_b32_e32 v68, v63, v52
	s_wait_loadcnt 0x1
	s_wait_xcnt 0x1
	v_xor3_b32 v29, v58, v29, v27
	s_delay_alu instid0(VALU_DEP_2) | instskip(NEXT) | instid1(VALU_DEP_2)
	v_lshrrev_b32_e32 v74, 14, v68
	v_xor_b32_e32 v58, v29, v28
	v_xor_b32_e32 v82, v64, v56
	v_bitop3_b32 v29, v29, 0xff, v28 bitop3:0x48
	v_bitop3_b32 v64, v64, 0xff, v56 bitop3:0x48
	v_and_b32_e32 v74, 0x3fc, v74
	v_lshrrev_b32_e32 v45, 22, v58
	v_lshrrev_b32_e32 v83, 6, v82
	s_delay_alu instid0(VALU_DEP_2)
	v_and_b32_e32 v45, 0x3fc, v45
	global_load_b32 v45, v45, s[14:15]
	global_load_b32 v74, v74, s[12:13]
	global_load_b32 v80, v80, s[2:3]
	global_load_b32 v44, v44, s[16:17] scale_offset
	v_and_b32_e32 v83, 0x3fc, v83
	s_wait_loadcnt 0x1
	s_wait_xcnt 0x2
	v_xor3_b32 v74, v45, v74, v80
	s_wait_loadcnt 0x0
	v_xor3_b32 v65, v65, v44, v27
	v_dual_lshrrev_b32 v45, 14, v81 :: v_dual_bitop2_b32 v84, v43, v28 bitop3:0x14
	s_delay_alu instid0(VALU_DEP_2) | instskip(NEXT) | instid1(VALU_DEP_2)
	v_xor_b32_e32 v80, v65, v28
	v_and_b32_e32 v45, 0x3fc, v45
	v_bitop3_b32 v65, v65, 0xff, v28 bitop3:0x48
	s_delay_alu instid0(VALU_DEP_3) | instskip(NEXT) | instid1(VALU_DEP_1)
	v_lshrrev_b32_e32 v44, 22, v80
	v_and_b32_e32 v44, 0x3fc, v44
	global_load_b32 v44, v44, s[14:15]
	global_load_b32 v45, v45, s[12:13]
	;; [unrolled: 1-line block ×3, first 2 shown]
	s_wait_loadcnt 0x0
	v_xor3_b32 v83, v44, v45, v83
	v_dual_lshrrev_b32 v44, 22, v79 :: v_dual_lshrrev_b32 v45, 14, v84
	s_delay_alu instid0(VALU_DEP_1) | instskip(NEXT) | instid1(VALU_DEP_2)
	v_and_b32_e32 v44, 0x3fc, v44
	v_and_b32_e32 v45, 0x3fc, v45
	global_load_b32 v44, v44, s[14:15]
	global_load_b32 v45, v45, s[12:13]
	s_wait_loadcnt 0x0
	v_xor_b32_e32 v44, v44, v45
	v_bitop3_b32 v45, v63, 0xff, v52 bitop3:0x48
	v_lshrrev_b32_e32 v63, 6, v58
	s_delay_alu instid0(VALU_DEP_1)
	v_and_b32_e32 v63, 0x3fc, v63
	global_load_b32 v45, v45, s[16:17] scale_offset
	global_load_b32 v63, v63, s[2:3]
	s_wait_loadcnt 0x0
	v_xor3_b32 v45, v44, v63, v45
	v_dual_lshrrev_b32 v44, 14, v58 :: v_dual_lshrrev_b32 v58, 22, v84
	v_lshrrev_b32_e32 v63, 6, v68
	s_delay_alu instid0(VALU_DEP_2) | instskip(NEXT) | instid1(VALU_DEP_3)
	v_and_b32_e32 v44, 0x3fc, v44
	v_and_b32_e32 v58, 0x3fc, v58
	s_delay_alu instid0(VALU_DEP_3)
	v_and_b32_e32 v63, 0x3fc, v63
	global_load_b32 v58, v58, s[14:15]
	global_load_b32 v44, v44, s[12:13]
	s_wait_loadcnt 0x0
	v_xor_b32_e32 v44, v58, v44
	v_bitop3_b32 v58, v67, 0xff, v56 bitop3:0x48
	global_load_b32 v58, v58, s[16:17] scale_offset
	global_load_b32 v63, v63, s[2:3]
	s_wait_loadcnt 0x0
	v_xor3_b32 v58, v44, v63, v58
	v_dual_lshrrev_b32 v44, 22, v68 :: v_dual_lshrrev_b32 v63, 14, v79
	s_delay_alu instid0(VALU_DEP_1) | instskip(NEXT) | instid1(VALU_DEP_2)
	v_and_b32_e32 v44, 0x3fc, v44
	v_and_b32_e32 v63, 0x3fc, v63
	global_load_b32 v44, v44, s[14:15]
	global_load_b32 v63, v63, s[12:13]
	s_wait_loadcnt 0x0
	v_dual_lshrrev_b32 v63, 6, v84 :: v_dual_bitop2_b32 v44, v44, v63 bitop3:0x14
	s_delay_alu instid0(VALU_DEP_1)
	v_and_b32_e32 v63, 0x3fc, v63
	global_load_b32 v29, v29, s[16:17] scale_offset
	global_load_b32 v63, v63, s[2:3]
	s_wait_loadcnt 0x0
	v_xor3_b32 v29, v44, v63, v29
	v_dual_lshrrev_b32 v44, 22, v82 :: v_dual_bitop2_b32 v63, v53, v28 bitop3:0x14
	v_bitop3_b32 v53, v53, 0xff, v28 bitop3:0x48
	s_delay_alu instid0(VALU_DEP_2) | instskip(NEXT) | instid1(VALU_DEP_3)
	v_and_b32_e32 v44, 0x3fc, v44
	v_lshrrev_b32_e32 v67, 14, v63
	s_delay_alu instid0(VALU_DEP_1) | instskip(SKIP_4) | instid1(VALU_DEP_1)
	v_and_b32_e32 v67, 0x3fc, v67
	global_load_b32 v44, v44, s[14:15]
	global_load_b32 v67, v67, s[12:13]
	s_wait_loadcnt 0x0
	v_dual_lshrrev_b32 v67, 6, v80 :: v_dual_bitop2_b32 v44, v44, v67 bitop3:0x14
	v_and_b32_e32 v67, 0x3fc, v67
	global_load_b32 v61, v61, s[16:17] scale_offset
	global_load_b32 v67, v67, s[2:3]
	s_wait_loadcnt 0x0
	v_xor3_b32 v44, v44, v67, v61
	v_dual_lshrrev_b32 v67, 22, v63 :: v_dual_lshrrev_b32 v61, 14, v80
	v_lshrrev_b32_e32 v63, 6, v63
	s_delay_alu instid0(VALU_DEP_2) | instskip(NEXT) | instid1(VALU_DEP_3)
	v_and_b32_e32 v67, 0x3fc, v67
	v_and_b32_e32 v61, 0x3fc, v61
	global_load_b32 v67, v67, s[14:15]
	global_load_b32 v61, v61, s[12:13]
	v_and_b32_e32 v63, 0x3fc, v63
	s_wait_loadcnt 0x0
	v_xor_b32_e32 v61, v67, v61
	v_lshrrev_b32_e32 v67, 6, v81
	s_delay_alu instid0(VALU_DEP_1)
	v_and_b32_e32 v67, 0x3fc, v67
	global_load_b32 v64, v64, s[16:17] scale_offset
	global_load_b32 v67, v67, s[2:3]
	s_wait_loadcnt 0x0
	v_xor3_b32 v61, v61, v67, v64
	v_dual_lshrrev_b32 v64, 22, v81 :: v_dual_lshrrev_b32 v67, 14, v82
	s_delay_alu instid0(VALU_DEP_1) | instskip(NEXT) | instid1(VALU_DEP_2)
	v_and_b32_e32 v64, 0x3fc, v64
	v_and_b32_e32 v67, 0x3fc, v67
	global_load_b32 v64, v64, s[14:15]
	global_load_b32 v67, v67, s[12:13]
	global_load_b32 v65, v65, s[16:17] scale_offset
	global_load_b32 v63, v63, s[2:3]
	s_wait_loadcnt 0x2
	s_wait_xcnt 0x3
	v_xor_b32_e32 v64, v64, v67
	v_bitop3_b32 v67, v37, 0xff, v38 bitop3:0x48
	s_wait_loadcnt 0x0
	s_delay_alu instid0(VALU_DEP_2) | instskip(SKIP_1) | instid1(VALU_DEP_2)
	v_xor3_b32 v63, v64, v63, v65
	v_dual_lshrrev_b32 v64, 14, v7 :: v_dual_lshrrev_b32 v65, 6, v7
	v_xor_b32_e32 v82, v63, v7
	s_delay_alu instid0(VALU_DEP_2) | instskip(NEXT) | instid1(VALU_DEP_3)
	v_and_b32_e32 v64, 0x3fc, v64
	v_and_b32_e32 v65, 0x3fc, v65
	global_load_b32 v64, v64, s[14:15]
	global_load_b32 v67, v67, s[2:3] scale_offset
	global_load_b32 v65, v65, s[12:13]
	global_load_b32 v30, v30, s[16:17] scale_offset
	s_wait_loadcnt 0x2
	s_wait_xcnt 0x2
	v_and_b32_e32 v67, 0xff, v67
	v_perm_b32 v64, v73, v64, 0x7020c0c
	s_wait_loadcnt 0x1
	s_wait_xcnt 0x1
	v_and_b32_e32 v65, 0xff00, v65
	s_wait_loadcnt 0x0
	v_xor3_b32 v30, v66, v30, v23
	s_delay_alu instid0(VALU_DEP_2) | instskip(NEXT) | instid1(VALU_DEP_2)
	v_or3_b32 v64, v64, v65, v67
	v_xor_b32_e32 v67, v30, v37
	v_xor_b32_e32 v65, v62, v37
	v_bitop3_b32 v62, v62, 0xff, v37 bitop3:0x48
	v_bitop3_b32 v30, v30, 0xff, v37 bitop3:0x48
	s_delay_alu instid0(VALU_DEP_4) | instskip(NEXT) | instid1(VALU_DEP_4)
	v_lshrrev_b32_e32 v68, 14, v67
	v_dual_lshrrev_b32 v80, 14, v65 :: v_dual_bitop2_b32 v73, v57, v7 bitop3:0x14
	v_lshrrev_b32_e32 v66, 22, v65
	v_bitop3_b32 v57, v57, 0xff, v7 bitop3:0x48
	s_delay_alu instid0(VALU_DEP_4) | instskip(NEXT) | instid1(VALU_DEP_4)
	v_and_b32_e32 v68, 0x3fc, v68
	v_lshrrev_b32_e32 v79, 6, v73
	v_and_b32_e32 v80, 0x3fc, v80
	v_and_b32_e32 v66, 0x3fc, v66
	v_lshrrev_b32_e32 v65, 6, v65
	s_delay_alu instid0(VALU_DEP_4)
	v_and_b32_e32 v79, 0x3fc, v79
	global_load_b32 v66, v66, s[14:15]
	global_load_b32 v68, v68, s[12:13]
	;; [unrolled: 1-line block ×3, first 2 shown]
	v_and_b32_e32 v65, 0x3fc, v65
	s_wait_loadcnt 0x0
	v_xor3_b32 v66, v66, v68, v79
	v_xor_b32_e32 v68, v41, v39
	v_bitop3_b32 v41, v41, 0xff, v39 bitop3:0x48
	s_delay_alu instid0(VALU_DEP_2) | instskip(NEXT) | instid1(VALU_DEP_1)
	v_lshrrev_b32_e32 v79, 22, v68
	v_and_b32_e32 v79, 0x3fc, v79
	global_load_b32 v79, v79, s[14:15]
	global_load_b32 v80, v80, s[12:13]
	s_wait_loadcnt 0x0
	v_xor_b32_e32 v79, v80, v79
	v_dual_lshrrev_b32 v80, 6, v67 :: v_dual_lshrrev_b32 v67, 22, v67
	s_delay_alu instid0(VALU_DEP_1)
	v_and_b32_e32 v80, 0x3fc, v80
	global_load_b32 v57, v57, s[16:17] scale_offset
	global_load_b32 v80, v80, s[2:3]
	v_and_b32_e32 v67, 0x3fc, v67
	s_wait_loadcnt 0x0
	v_xor3_b32 v57, v79, v80, v57
	v_lshrrev_b32_e32 v79, 14, v73
	s_delay_alu instid0(VALU_DEP_1)
	v_and_b32_e32 v79, 0x3fc, v79
	global_load_b32 v67, v67, s[14:15]
	global_load_b32 v79, v79, s[12:13]
	s_wait_loadcnt 0x0
	v_dual_lshrrev_b32 v79, 6, v68 :: v_dual_bitop2_b32 v67, v67, v79 bitop3:0x14
	v_lshrrev_b32_e32 v68, 14, v68
	s_delay_alu instid0(VALU_DEP_2)
	v_and_b32_e32 v79, 0x3fc, v79
	global_load_b32 v62, v62, s[16:17] scale_offset
	global_load_b32 v79, v79, s[2:3]
	v_and_b32_e32 v68, 0x3fc, v68
	s_wait_loadcnt 0x0
	v_xor3_b32 v67, v67, v79, v62
	v_lshrrev_b32_e32 v62, 22, v73
	s_delay_alu instid0(VALU_DEP_1)
	v_and_b32_e32 v62, 0x3fc, v62
	global_load_b32 v62, v62, s[14:15]
	global_load_b32 v68, v68, s[12:13]
	global_load_b32 v30, v30, s[16:17] scale_offset
	global_load_b32 v65, v65, s[2:3]
	s_wait_loadcnt 0x2
	s_wait_xcnt 0x3
	v_xor_b32_e32 v62, v62, v68
	s_wait_loadcnt 0x0
	s_delay_alu instid0(VALU_DEP_1)
	v_xor3_b32 v62, v62, v65, v30
	v_bitop3_b32 v30, v43, 0xff, v28 bitop3:0x48
	global_load_b32 v30, v30, s[16:17] scale_offset
	s_wait_loadcnt 0x0
	v_xor3_b32 v30, v74, v30, v23
	v_xor_b32_e32 v74, v29, v7
	v_bitop3_b32 v29, v29, 0xff, v7 bitop3:0x48
	s_delay_alu instid0(VALU_DEP_3) | instskip(SKIP_3) | instid1(VALU_DEP_4)
	v_xor_b32_e32 v68, v30, v37
	v_xor_b32_e32 v43, v58, v37
	v_bitop3_b32 v58, v58, 0xff, v37 bitop3:0x48
	v_bitop3_b32 v30, v30, 0xff, v37 bitop3:0x48
	v_dual_lshrrev_b32 v79, 6, v74 :: v_dual_lshrrev_b32 v73, 14, v68
	s_delay_alu instid0(VALU_DEP_4) | instskip(SKIP_1) | instid1(VALU_DEP_3)
	v_dual_lshrrev_b32 v65, 22, v43 :: v_dual_lshrrev_b32 v84, 14, v43
	v_lshrrev_b32_e32 v43, 6, v43
	v_and_b32_e32 v79, 0x3fc, v79
	s_delay_alu instid0(VALU_DEP_4) | instskip(NEXT) | instid1(VALU_DEP_4)
	v_and_b32_e32 v73, 0x3fc, v73
	v_and_b32_e32 v65, 0x3fc, v65
	global_load_b32 v65, v65, s[14:15]
	global_load_b32 v73, v73, s[12:13]
	;; [unrolled: 1-line block ×3, first 2 shown]
	global_load_b32 v53, v53, s[16:17] scale_offset
	v_and_b32_e32 v84, 0x3fc, v84
	v_and_b32_e32 v43, 0x3fc, v43
	s_wait_loadcnt 0x1
	s_wait_xcnt 0x1
	v_xor3_b32 v79, v65, v73, v79
	s_wait_loadcnt 0x0
	v_xor3_b32 v53, v83, v53, v23
	v_dual_lshrrev_b32 v83, 6, v82 :: v_dual_bitop2_b32 v65, v61, v37 bitop3:0x14
	s_delay_alu instid0(VALU_DEP_2) | instskip(NEXT) | instid1(VALU_DEP_2)
	v_xor_b32_e32 v80, v53, v37
	v_lshrrev_b32_e32 v73, 22, v65
	s_delay_alu instid0(VALU_DEP_3) | instskip(NEXT) | instid1(VALU_DEP_3)
	v_and_b32_e32 v83, 0x3fc, v83
	v_lshrrev_b32_e32 v81, 14, v80
	s_delay_alu instid0(VALU_DEP_3) | instskip(NEXT) | instid1(VALU_DEP_2)
	v_and_b32_e32 v73, 0x3fc, v73
	v_and_b32_e32 v81, 0x3fc, v81
	global_load_b32 v73, v73, s[14:15]
	global_load_b32 v81, v81, s[12:13]
	;; [unrolled: 1-line block ×3, first 2 shown]
	s_wait_loadcnt 0x0
	v_xor3_b32 v81, v73, v81, v83
	v_xor_b32_e32 v73, v45, v39
	v_bitop3_b32 v45, v45, 0xff, v39 bitop3:0x48
	s_delay_alu instid0(VALU_DEP_2) | instskip(NEXT) | instid1(VALU_DEP_1)
	v_lshrrev_b32_e32 v83, 22, v73
	v_and_b32_e32 v83, 0x3fc, v83
	global_load_b32 v83, v83, s[14:15]
	global_load_b32 v84, v84, s[12:13]
	s_wait_loadcnt 0x0
	v_xor_b32_e32 v83, v83, v84
	v_lshrrev_b32_e32 v84, 6, v68
	s_delay_alu instid0(VALU_DEP_1)
	v_and_b32_e32 v84, 0x3fc, v84
	global_load_b32 v29, v29, s[16:17] scale_offset
	global_load_b32 v84, v84, s[2:3]
	s_wait_loadcnt 0x0
	v_xor3_b32 v83, v83, v84, v29
	v_dual_lshrrev_b32 v29, 22, v68 :: v_dual_lshrrev_b32 v68, 14, v74
	s_delay_alu instid0(VALU_DEP_1) | instskip(NEXT) | instid1(VALU_DEP_2)
	v_and_b32_e32 v29, 0x3fc, v29
	v_and_b32_e32 v68, 0x3fc, v68
	global_load_b32 v29, v29, s[14:15]
	global_load_b32 v68, v68, s[12:13]
	s_wait_loadcnt 0x0
	v_dual_lshrrev_b32 v68, 6, v73 :: v_dual_bitop2_b32 v29, v29, v68 bitop3:0x14
	s_delay_alu instid0(VALU_DEP_1)
	v_and_b32_e32 v68, 0x3fc, v68
	global_load_b32 v58, v58, s[16:17] scale_offset
	global_load_b32 v68, v68, s[2:3]
	s_wait_loadcnt 0x0
	v_xor3_b32 v58, v29, v68, v58
	v_dual_lshrrev_b32 v29, 22, v74 :: v_dual_lshrrev_b32 v68, 14, v73
	s_delay_alu instid0(VALU_DEP_1) | instskip(NEXT) | instid1(VALU_DEP_2)
	v_and_b32_e32 v29, 0x3fc, v29
	v_and_b32_e32 v68, 0x3fc, v68
	global_load_b32 v29, v29, s[14:15]
	global_load_b32 v68, v68, s[12:13]
	global_load_b32 v30, v30, s[16:17] scale_offset
	global_load_b32 v43, v43, s[2:3]
	s_wait_loadcnt 0x2
	s_wait_xcnt 0x3
	v_xor_b32_e32 v29, v29, v68
	s_wait_loadcnt 0x0
	s_delay_alu instid0(VALU_DEP_1) | instskip(SKIP_2) | instid1(VALU_DEP_2)
	v_xor3_b32 v68, v29, v43, v30
	v_dual_lshrrev_b32 v43, 14, v65 :: v_dual_bitop2_b32 v29, v44, v39 bitop3:0x14
	v_bitop3_b32 v44, v44, 0xff, v39 bitop3:0x48
	v_lshrrev_b32_e32 v30, 22, v29
	s_delay_alu instid0(VALU_DEP_3) | instskip(NEXT) | instid1(VALU_DEP_2)
	v_and_b32_e32 v43, 0x3fc, v43
	v_and_b32_e32 v30, 0x3fc, v30
	global_load_b32 v30, v30, s[14:15]
	global_load_b32 v43, v43, s[12:13]
	s_wait_loadcnt 0x0
	v_xor_b32_e32 v30, v30, v43
	v_bitop3_b32 v43, v63, 0xff, v7 bitop3:0x48
	v_lshrrev_b32_e32 v63, 6, v80
	s_delay_alu instid0(VALU_DEP_1)
	v_and_b32_e32 v63, 0x3fc, v63
	global_load_b32 v43, v43, s[16:17] scale_offset
	global_load_b32 v63, v63, s[2:3]
	s_wait_loadcnt 0x0
	v_xor3_b32 v63, v30, v63, v43
	v_dual_lshrrev_b32 v30, 22, v80 :: v_dual_lshrrev_b32 v43, 14, v82
	s_delay_alu instid0(VALU_DEP_1) | instskip(NEXT) | instid1(VALU_DEP_2)
	v_and_b32_e32 v30, 0x3fc, v30
	v_and_b32_e32 v43, 0x3fc, v43
	global_load_b32 v30, v30, s[14:15]
	global_load_b32 v43, v43, s[12:13]
	s_wait_loadcnt 0x0
	v_xor_b32_e32 v30, v30, v43
	v_bitop3_b32 v43, v61, 0xff, v37 bitop3:0x48
	v_dual_lshrrev_b32 v61, 6, v29 :: v_dual_lshrrev_b32 v29, 14, v29
	s_delay_alu instid0(VALU_DEP_1) | instskip(NEXT) | instid1(VALU_DEP_2)
	v_and_b32_e32 v61, 0x3fc, v61
	v_and_b32_e32 v29, 0x3fc, v29
	global_load_b32 v43, v43, s[16:17] scale_offset
	global_load_b32 v61, v61, s[2:3]
	s_wait_loadcnt 0x0
	v_xor3_b32 v74, v30, v61, v43
	v_lshrrev_b32_e32 v30, 22, v82
	v_bitop3_b32 v43, v53, 0xff, v37 bitop3:0x48
	s_delay_alu instid0(VALU_DEP_2)
	v_and_b32_e32 v30, 0x3fc, v30
	global_load_b32 v30, v30, s[14:15]
	global_load_b32 v29, v29, s[12:13]
	s_wait_loadcnt 0x0
	v_xor_b32_e32 v29, v30, v29
	v_lshrrev_b32_e32 v30, 6, v65
	s_delay_alu instid0(VALU_DEP_1)
	v_and_b32_e32 v30, 0x3fc, v30
	global_load_b32 v43, v43, s[16:17] scale_offset
	global_load_b32 v30, v30, s[2:3]
	s_wait_loadcnt 0x0
	v_xor3_b32 v80, v29, v30, v43
	v_xor_b32_e32 v29, v64, v56
	s_delay_alu instid0(VALU_DEP_1) | instskip(NEXT) | instid1(VALU_DEP_1)
	v_xor_b32_e32 v30, v29, v27
	v_xor_b32_e32 v53, v30, v52
	s_delay_alu instid0(VALU_DEP_1) | instskip(SKIP_1) | instid1(VALU_DEP_2)
	v_dual_lshrrev_b32 v43, 22, v53 :: v_dual_lshrrev_b32 v61, 14, v53
	v_bitop3_b32 v64, v30, 0xff, v52 bitop3:0x48
	v_and_b32_e32 v43, 0x3fc, v43
	s_delay_alu instid0(VALU_DEP_3)
	v_and_b32_e32 v61, 0x3fc, v61
	global_load_b32 v43, v43, s[2:3]
	global_load_b32 v61, v61, s[16:17]
	s_wait_loadcnt 0x0
	v_perm_b32 v43, v61, v43, 0x70c0c00
	v_lshrrev_b32_e32 v61, 6, v53
	s_delay_alu instid0(VALU_DEP_1)
	v_and_b32_e32 v61, 0x3fc, v61
	global_load_b32 v64, v64, s[12:13] scale_offset
	global_load_b32 v61, v61, s[14:15]
	global_load_b32 v41, v41, s[16:17] scale_offset
	s_wait_loadcnt 0x2
	s_wait_xcnt 0x2
	v_and_b32_e32 v64, 0xff00, v64
	s_wait_loadcnt 0x1
	s_wait_xcnt 0x1
	v_and_b32_e32 v61, 0xff0000, v61
	s_wait_loadcnt 0x0
	v_xor3_b32 v41, v66, v41, v28
	s_delay_alu instid0(VALU_DEP_2) | instskip(SKIP_2) | instid1(VALU_DEP_2)
	v_or3_b32 v43, v43, v61, v64
	v_xor_b32_e32 v61, v57, v29
	v_bitop3_b32 v57, v57, 0xff, v29 bitop3:0x48
	v_lshrrev_b32_e32 v64, 22, v61
	v_xor_b32_e32 v84, v62, v53
	v_xor_b32_e32 v65, v41, v29
	v_bitop3_b32 v82, v62, 0xff, v53 bitop3:0x48
	v_bitop3_b32 v41, v41, 0xff, v29 bitop3:0x48
	;; [unrolled: 1-line block ×3, first 2 shown]
	v_dual_lshrrev_b32 v62, 6, v84 :: v_dual_bitop2_b32 v68, v68, v53 bitop3:0x14
	v_lshrrev_b32_e32 v66, 14, v65
	v_and_b32_e32 v64, 0x3fc, v64
	s_delay_alu instid0(VALU_DEP_3) | instskip(NEXT) | instid1(VALU_DEP_3)
	v_and_b32_e32 v62, 0x3fc, v62
	v_and_b32_e32 v66, 0x3fc, v66
	global_load_b32 v64, v64, s[14:15]
	global_load_b32 v66, v66, s[12:13]
	s_wait_loadcnt 0x0
	v_xor_b32_e32 v64, v66, v64
	v_xor_b32_e32 v66, v67, v30
	s_delay_alu instid0(VALU_DEP_1) | instskip(NEXT) | instid1(VALU_DEP_1)
	v_lshrrev_b32_e32 v73, 6, v66
	v_and_b32_e32 v73, 0x3fc, v73
	global_load_b32 v82, v82, s[16:17] scale_offset
	global_load_b32 v73, v73, s[2:3]
	s_wait_loadcnt 0x0
	v_xor3_b32 v82, v64, v73, v82
	v_dual_lshrrev_b32 v64, 22, v65 :: v_dual_lshrrev_b32 v73, 14, v66
	s_delay_alu instid0(VALU_DEP_1) | instskip(NEXT) | instid1(VALU_DEP_2)
	v_and_b32_e32 v64, 0x3fc, v64
	v_and_b32_e32 v73, 0x3fc, v73
	global_load_b32 v64, v64, s[14:15]
	global_load_b32 v73, v73, s[12:13]
	global_load_b32 v57, v57, s[16:17] scale_offset
	global_load_b32 v62, v62, s[2:3]
	s_wait_loadcnt 0x2
	s_wait_xcnt 0x3
	v_xor_b32_e32 v64, v64, v73
	v_dual_lshrrev_b32 v21, 22, v84 :: v_dual_bitop2_b32 v73, v43, v21 bitop3:0x14
	s_wait_loadcnt 0x0
	s_delay_alu instid0(VALU_DEP_2) | instskip(SKIP_1) | instid1(VALU_DEP_1)
	v_xor3_b32 v62, v64, v62, v57
	v_dual_lshrrev_b32 v57, 22, v66 :: v_dual_lshrrev_b32 v64, 14, v84
	v_and_b32_e32 v57, 0x3fc, v57
	s_delay_alu instid0(VALU_DEP_2) | instskip(SKIP_4) | instid1(VALU_DEP_1)
	v_and_b32_e32 v64, 0x3fc, v64
	global_load_b32 v57, v57, s[14:15]
	global_load_b32 v64, v64, s[12:13]
	s_wait_loadcnt 0x0
	v_dual_lshrrev_b32 v64, 6, v61 :: v_dual_bitop2_b32 v57, v57, v64 bitop3:0x14
	v_and_b32_e32 v64, 0x3fc, v64
	global_load_b32 v41, v41, s[16:17] scale_offset
	global_load_b32 v64, v64, s[2:3]
	s_wait_loadcnt 0x0
	v_xor3_b32 v66, v57, v64, v41
	v_lshrrev_b32_e32 v41, 14, v61
	v_and_b32_e32 v21, 0x3fc, v21
	s_delay_alu instid0(VALU_DEP_2)
	v_and_b32_e32 v41, 0x3fc, v41
	global_load_b32 v21, v21, s[14:15]
	global_load_b32 v41, v41, s[12:13]
	s_wait_loadcnt 0x0
	v_xor_b32_e32 v57, v21, v41
	v_lshrrev_b32_e32 v21, 6, v65
	v_bitop3_b32 v41, v67, 0xff, v30 bitop3:0x48
	s_delay_alu instid0(VALU_DEP_2)
	v_and_b32_e32 v21, 0x3fc, v21
	global_load_b32 v61, v41, s[16:17] scale_offset
	global_load_b32 v64, v21, s[2:3]
	s_wait_xcnt 0x1
	v_xor_b32_e32 v41, 0.5, v73
	global_load_b32 v45, v45, s[16:17] scale_offset
	s_wait_xcnt 0x1
	v_xor_b32_e32 v21, v41, v23
	s_delay_alu instid0(VALU_DEP_1) | instskip(NEXT) | instid1(VALU_DEP_1)
	v_xor_b32_e32 v43, v21, v7
	v_lshrrev_b32_e32 v65, 22, v43
	s_delay_alu instid0(VALU_DEP_1)
	v_and_b32_e32 v65, 0x3fc, v65
	global_load_b32 v67, v65, s[16:17]
	s_wait_loadcnt 0x2
	s_wait_xcnt 0x0
	v_xor3_b32 v65, v57, v64, v61
	v_xor_b32_e32 v57, v83, v29
	v_bitop3_b32 v83, v83, 0xff, v29 bitop3:0x48
	s_wait_loadcnt 0x1
	v_xor3_b32 v45, v79, v45, v28
	s_delay_alu instid0(VALU_DEP_3) | instskip(NEXT) | instid1(VALU_DEP_2)
	v_lshrrev_b32_e32 v61, 22, v57
	v_xor_b32_e32 v64, v45, v29
	v_bitop3_b32 v45, v45, 0xff, v29 bitop3:0x48
	s_delay_alu instid0(VALU_DEP_3) | instskip(NEXT) | instid1(VALU_DEP_3)
	v_and_b32_e32 v61, 0x3fc, v61
	v_lshrrev_b32_e32 v79, 14, v64
	s_delay_alu instid0(VALU_DEP_1)
	v_and_b32_e32 v79, 0x3fc, v79
	global_load_b32 v61, v61, s[14:15]
	global_load_b32 v79, v79, s[12:13]
	s_wait_loadcnt 0x0
	v_xor_b32_e32 v61, v61, v79
	v_xor_b32_e32 v79, v58, v30
	v_bitop3_b32 v58, v58, 0xff, v30 bitop3:0x48
	s_delay_alu instid0(VALU_DEP_2) | instskip(NEXT) | instid1(VALU_DEP_1)
	v_lshrrev_b32_e32 v84, 6, v79
	v_and_b32_e32 v84, 0x3fc, v84
	global_load_b32 v85, v85, s[16:17] scale_offset
	global_load_b32 v84, v84, s[2:3]
	s_wait_loadcnt 0x0
	v_xor3_b32 v84, v61, v84, v85
	v_dual_lshrrev_b32 v61, 22, v64 :: v_dual_lshrrev_b32 v85, 14, v79
	s_delay_alu instid0(VALU_DEP_1) | instskip(NEXT) | instid1(VALU_DEP_2)
	v_and_b32_e32 v61, 0x3fc, v61
	v_and_b32_e32 v85, 0x3fc, v85
	global_load_b32 v61, v61, s[14:15]
	global_load_b32 v85, v85, s[12:13]
	s_wait_loadcnt 0x0
	v_dual_lshrrev_b32 v85, 6, v68 :: v_dual_bitop2_b32 v61, v61, v85 bitop3:0x14
	v_lshrrev_b32_e32 v64, 6, v64
	s_delay_alu instid0(VALU_DEP_2) | instskip(NEXT) | instid1(VALU_DEP_2)
	v_and_b32_e32 v85, 0x3fc, v85
	v_and_b32_e32 v64, 0x3fc, v64
	global_load_b32 v83, v83, s[16:17] scale_offset
	global_load_b32 v85, v85, s[2:3]
	s_wait_loadcnt 0x0
	v_xor3_b32 v61, v61, v85, v83
	v_dual_lshrrev_b32 v83, 14, v68 :: v_dual_lshrrev_b32 v79, 22, v79
	v_lshrrev_b32_e32 v68, 22, v68
	s_delay_alu instid0(VALU_DEP_2) | instskip(NEXT) | instid1(VALU_DEP_3)
	v_and_b32_e32 v83, 0x3fc, v83
	v_and_b32_e32 v79, 0x3fc, v79
	global_load_b32 v79, v79, s[14:15]
	global_load_b32 v83, v83, s[12:13]
	s_wait_loadcnt 0x0
	v_dual_lshrrev_b32 v83, 6, v57 :: v_dual_bitop2_b32 v79, v79, v83 bitop3:0x14
	v_lshrrev_b32_e32 v57, 14, v57
	v_and_b32_e32 v68, 0x3fc, v68
	s_delay_alu instid0(VALU_DEP_3) | instskip(NEXT) | instid1(VALU_DEP_3)
	v_and_b32_e32 v83, 0x3fc, v83
	v_and_b32_e32 v57, 0x3fc, v57
	global_load_b32 v45, v45, s[16:17] scale_offset
	global_load_b32 v83, v83, s[2:3]
	global_load_b32 v68, v68, s[14:15]
	;; [unrolled: 1-line block ×3, first 2 shown]
	global_load_b32 v58, v58, s[16:17] scale_offset
	global_load_b32 v64, v64, s[2:3]
	global_load_b32 v44, v44, s[16:17] scale_offset
	s_wait_loadcnt 0x5
	s_wait_xcnt 0x6
	v_xor3_b32 v45, v79, v83, v45
	s_wait_loadcnt 0x3
	s_wait_xcnt 0x3
	v_xor_b32_e32 v57, v68, v57
	v_bitop3_b32 v83, v80, 0xff, v53 bitop3:0x48
	s_wait_loadcnt 0x0
	v_xor3_b32 v44, v81, v44, v28
	s_delay_alu instid0(VALU_DEP_1) | instskip(SKIP_1) | instid1(VALU_DEP_2)
	v_xor_b32_e32 v68, v44, v29
	v_bitop3_b32 v44, v44, 0xff, v29 bitop3:0x48
	v_lshrrev_b32_e32 v79, 14, v68
	v_xor3_b32 v64, v57, v64, v58
	v_xor_b32_e32 v57, v63, v29
	v_bitop3_b32 v63, v63, 0xff, v29 bitop3:0x48
	s_delay_alu instid0(VALU_DEP_4) | instskip(NEXT) | instid1(VALU_DEP_3)
	v_and_b32_e32 v79, 0x3fc, v79
	v_lshrrev_b32_e32 v58, 22, v57
	s_delay_alu instid0(VALU_DEP_1)
	v_and_b32_e32 v58, 0x3fc, v58
	global_load_b32 v58, v58, s[14:15]
	global_load_b32 v79, v79, s[12:13]
	s_wait_loadcnt 0x0
	v_xor_b32_e32 v58, v58, v79
	v_xor_b32_e32 v79, v74, v30
	s_delay_alu instid0(VALU_DEP_1) | instskip(NEXT) | instid1(VALU_DEP_1)
	v_dual_lshrrev_b32 v81, 6, v79 :: v_dual_bitop2_b32 v80, v80, v53 bitop3:0x14
	v_and_b32_e32 v81, 0x3fc, v81
	global_load_b32 v83, v83, s[16:17] scale_offset
	global_load_b32 v81, v81, s[2:3]
	s_wait_loadcnt 0x0
	v_xor3_b32 v58, v58, v81, v83
	v_dual_lshrrev_b32 v83, 14, v79 :: v_dual_lshrrev_b32 v81, 22, v68
	s_delay_alu instid0(VALU_DEP_1) | instskip(NEXT) | instid1(VALU_DEP_2)
	v_and_b32_e32 v83, 0x3fc, v83
	v_and_b32_e32 v81, 0x3fc, v81
	global_load_b32 v81, v81, s[14:15]
	global_load_b32 v83, v83, s[12:13]
	s_wait_loadcnt 0x0
	v_dual_lshrrev_b32 v83, 6, v80 :: v_dual_bitop2_b32 v81, v81, v83 bitop3:0x14
	s_delay_alu instid0(VALU_DEP_1)
	v_and_b32_e32 v83, 0x3fc, v83
	global_load_b32 v63, v63, s[16:17] scale_offset
	global_load_b32 v83, v83, s[2:3]
	s_wait_loadcnt 0x0
	v_xor3_b32 v81, v81, v83, v63
	v_dual_lshrrev_b32 v63, 22, v79 :: v_dual_lshrrev_b32 v79, 14, v80
	s_delay_alu instid0(VALU_DEP_1) | instskip(NEXT) | instid1(VALU_DEP_2)
	v_and_b32_e32 v63, 0x3fc, v63
	v_and_b32_e32 v79, 0x3fc, v79
	global_load_b32 v63, v63, s[14:15]
	global_load_b32 v79, v79, s[12:13]
	s_wait_loadcnt 0x0
	v_dual_lshrrev_b32 v79, 6, v57 :: v_dual_bitop2_b32 v63, v63, v79 bitop3:0x14
	v_lshrrev_b32_e32 v57, 14, v57
	s_delay_alu instid0(VALU_DEP_2) | instskip(NEXT) | instid1(VALU_DEP_2)
	v_and_b32_e32 v79, 0x3fc, v79
	v_and_b32_e32 v57, 0x3fc, v57
	global_load_b32 v44, v44, s[16:17] scale_offset
	global_load_b32 v79, v79, s[2:3]
	s_wait_loadcnt 0x0
	v_xor3_b32 v79, v63, v79, v44
	v_lshrrev_b32_e32 v44, 22, v80
	v_bitop3_b32 v63, v74, 0xff, v30 bitop3:0x48
	s_delay_alu instid0(VALU_DEP_3) | instskip(NEXT) | instid1(VALU_DEP_3)
	v_xor_b32_e32 v92, v79, v21
	v_and_b32_e32 v44, 0x3fc, v44
	global_load_b32 v44, v44, s[14:15]
	global_load_b32 v57, v57, s[12:13]
	v_lshrrev_b32_e32 v93, 6, v92
	s_delay_alu instid0(VALU_DEP_1) | instskip(SKIP_2) | instid1(VALU_DEP_1)
	v_and_b32_e32 v93, 0x3fc, v93
	s_wait_loadcnt 0x0
	v_dual_lshrrev_b32 v57, 6, v68 :: v_dual_bitop2_b32 v44, v44, v57 bitop3:0x14
	v_and_b32_e32 v57, 0x3fc, v57
	global_load_b32 v63, v63, s[16:17] scale_offset
	global_load_b32 v57, v57, s[2:3]
	s_wait_loadcnt 0x0
	v_xor3_b32 v63, v44, v57, v63
	v_dual_lshrrev_b32 v44, 14, v43 :: v_dual_lshrrev_b32 v57, 6, v43
	s_delay_alu instid0(VALU_DEP_1) | instskip(NEXT) | instid1(VALU_DEP_2)
	v_and_b32_e32 v44, 0x3fc, v44
	v_and_b32_e32 v57, 0x3fc, v57
	global_load_b32 v44, v44, s[14:15]
	s_wait_loadcnt 0x0
	v_perm_b32 v44, v67, v44, 0x7020c0c
	v_bitop3_b32 v67, v21, 0xff, v7 bitop3:0x48
	global_load_b32 v67, v67, s[2:3] scale_offset
	global_load_b32 v57, v57, s[12:13]
	s_wait_loadcnt 0x1
	s_wait_xcnt 0x1
	v_and_b32_e32 v67, 0xff, v67
	s_wait_loadcnt 0x0
	v_and_b32_e32 v57, 0xff00, v57
	s_delay_alu instid0(VALU_DEP_1) | instskip(SKIP_4) | instid1(VALU_DEP_4)
	v_or3_b32 v44, v44, v57, v67
	v_xor_b32_e32 v67, v82, v41
	v_xor_b32_e32 v83, v66, v21
	v_bitop3_b32 v82, v82, 0xff, v41 bitop3:0x48
	v_bitop3_b32 v66, v66, 0xff, v21 bitop3:0x48
	v_dual_lshrrev_b32 v57, 22, v67 :: v_dual_lshrrev_b32 v87, 6, v67
	s_delay_alu instid0(VALU_DEP_4) | instskip(SKIP_1) | instid1(VALU_DEP_3)
	v_lshrrev_b32_e32 v85, 6, v83
	v_lshrrev_b32_e32 v67, 14, v67
	v_and_b32_e32 v68, 0x3fc, v57
	v_xor_b32_e32 v57, v41, v37
	s_delay_alu instid0(VALU_DEP_4) | instskip(SKIP_2) | instid1(VALU_DEP_4)
	v_and_b32_e32 v85, 0x3fc, v85
	v_and_b32_e32 v87, 0x3fc, v87
	;; [unrolled: 1-line block ×3, first 2 shown]
	v_xor_b32_e32 v74, v62, v57
	v_xor_b32_e32 v90, v81, v57
	v_bitop3_b32 v62, v62, 0xff, v57 bitop3:0x48
	s_delay_alu instid0(VALU_DEP_3) | instskip(NEXT) | instid1(VALU_DEP_3)
	v_lshrrev_b32_e32 v80, 14, v74
	v_lshrrev_b32_e32 v91, 14, v90
	s_delay_alu instid0(VALU_DEP_2)
	v_and_b32_e32 v80, 0x3fc, v80
	global_load_b32 v68, v68, s[14:15]
	global_load_b32 v80, v80, s[12:13]
	;; [unrolled: 1-line block ×3, first 2 shown]
	v_and_b32_e32 v91, 0x3fc, v91
	s_wait_loadcnt 0x0
	v_xor3_b32 v68, v68, v80, v85
	v_lshrrev_b32_e32 v80, 22, v83
	v_xor_b32_e32 v85, v65, v43
	v_lshrrev_b32_e32 v83, 14, v83
	v_bitop3_b32 v65, v65, 0xff, v43 bitop3:0x48
	s_delay_alu instid0(VALU_DEP_4) | instskip(NEXT) | instid1(VALU_DEP_4)
	v_and_b32_e32 v80, 0x3fc, v80
	v_lshrrev_b32_e32 v86, 14, v85
	s_delay_alu instid0(VALU_DEP_4) | instskip(NEXT) | instid1(VALU_DEP_2)
	v_and_b32_e32 v83, 0x3fc, v83
	v_and_b32_e32 v86, 0x3fc, v86
	global_load_b32 v80, v80, s[14:15]
	global_load_b32 v86, v86, s[12:13]
	global_load_b32 v87, v87, s[2:3]
	s_wait_loadcnt 0x0
	v_xor3_b32 v80, v80, v86, v87
	v_dual_lshrrev_b32 v86, 22, v74 :: v_dual_lshrrev_b32 v74, 6, v74
	s_delay_alu instid0(VALU_DEP_1)
	v_and_b32_e32 v86, 0x3fc, v86
	global_load_b32 v86, v86, s[14:15]
	global_load_b32 v83, v83, s[12:13]
	v_and_b32_e32 v74, 0x3fc, v74
	s_wait_loadcnt 0x0
	v_dual_lshrrev_b32 v86, 6, v85 :: v_dual_bitop2_b32 v83, v86, v83 bitop3:0x14
	s_delay_alu instid0(VALU_DEP_1)
	v_and_b32_e32 v86, 0x3fc, v86
	global_load_b32 v82, v82, s[16:17] scale_offset
	global_load_b32 v86, v86, s[2:3]
	s_wait_loadcnt 0x0
	v_xor3_b32 v82, v83, v86, v82
	v_lshrrev_b32_e32 v83, 22, v85
	v_xor_b32_e32 v86, v45, v21
	v_bitop3_b32 v45, v45, 0xff, v21 bitop3:0x48
	s_delay_alu instid0(VALU_DEP_3)
	v_and_b32_e32 v83, 0x3fc, v83
	global_load_b32 v83, v83, s[14:15]
	global_load_b32 v67, v67, s[12:13]
	global_load_b32 v66, v66, s[16:17] scale_offset
	global_load_b32 v74, v74, s[2:3]
	v_lshrrev_b32_e32 v87, 6, v86
	s_delay_alu instid0(VALU_DEP_1)
	v_and_b32_e32 v87, 0x3fc, v87
	s_wait_loadcnt 0x2
	s_wait_xcnt 0x2
	v_xor_b32_e32 v67, v83, v67
	v_xor_b32_e32 v83, v61, v57
	v_bitop3_b32 v61, v61, 0xff, v57 bitop3:0x48
	s_wait_loadcnt 0x0
	s_delay_alu instid0(VALU_DEP_3) | instskip(NEXT) | instid1(VALU_DEP_3)
	v_xor3_b32 v66, v67, v74, v66
	v_dual_lshrrev_b32 v85, 14, v83 :: v_dual_bitop2_b32 v67, v84, v41 bitop3:0x14
	v_bitop3_b32 v84, v84, 0xff, v41 bitop3:0x48
	s_delay_alu instid0(VALU_DEP_2) | instskip(NEXT) | instid1(VALU_DEP_3)
	v_lshrrev_b32_e32 v74, 22, v67
	v_and_b32_e32 v85, 0x3fc, v85
	v_dual_lshrrev_b32 v89, 6, v67 :: v_dual_lshrrev_b32 v67, 14, v67
	s_delay_alu instid0(VALU_DEP_3)
	v_and_b32_e32 v74, 0x3fc, v74
	global_load_b32 v74, v74, s[14:15]
	global_load_b32 v85, v85, s[12:13]
	;; [unrolled: 1-line block ×3, first 2 shown]
	v_and_b32_e32 v89, 0x3fc, v89
	v_and_b32_e32 v67, 0x3fc, v67
	s_wait_loadcnt 0x0
	v_xor3_b32 v85, v74, v85, v87
	v_dual_lshrrev_b32 v74, 22, v86 :: v_dual_bitop2_b32 v87, v64, v43 bitop3:0x14
	v_lshrrev_b32_e32 v86, 14, v86
	s_delay_alu instid0(VALU_DEP_2) | instskip(NEXT) | instid1(VALU_DEP_3)
	v_and_b32_e32 v74, 0x3fc, v74
	v_lshrrev_b32_e32 v88, 14, v87
	s_delay_alu instid0(VALU_DEP_1)
	v_and_b32_e32 v88, 0x3fc, v88
	global_load_b32 v74, v74, s[14:15]
	global_load_b32 v88, v88, s[12:13]
	;; [unrolled: 1-line block ×3, first 2 shown]
	s_wait_loadcnt 0x0
	v_xor3_b32 v88, v74, v88, v89
	v_xor_b32_e32 v74, v58, v41
	v_bitop3_b32 v58, v58, 0xff, v41 bitop3:0x48
	s_delay_alu instid0(VALU_DEP_2) | instskip(NEXT) | instid1(VALU_DEP_1)
	v_lshrrev_b32_e32 v89, 22, v74
	v_and_b32_e32 v89, 0x3fc, v89
	global_load_b32 v89, v89, s[14:15]
	global_load_b32 v91, v91, s[12:13]
	;; [unrolled: 1-line block ×3, first 2 shown]
	s_wait_loadcnt 0x0
	v_xor3_b32 v89, v89, v91, v93
	v_lshrrev_b32_e32 v91, 22, v83
	v_and_b32_e32 v86, 0x3fc, v86
	v_lshrrev_b32_e32 v83, 6, v83
	s_delay_alu instid0(VALU_DEP_3)
	v_and_b32_e32 v91, 0x3fc, v91
	global_load_b32 v91, v91, s[14:15]
	global_load_b32 v86, v86, s[12:13]
	v_and_b32_e32 v83, 0x3fc, v83
	s_wait_loadcnt 0x0
	v_dual_lshrrev_b32 v91, 6, v87 :: v_dual_bitop2_b32 v86, v91, v86 bitop3:0x14
	s_delay_alu instid0(VALU_DEP_1)
	v_and_b32_e32 v91, 0x3fc, v91
	global_load_b32 v84, v84, s[16:17] scale_offset
	global_load_b32 v91, v91, s[2:3]
	s_wait_loadcnt 0x0
	v_xor3_b32 v84, v86, v91, v84
	v_lshrrev_b32_e32 v86, 22, v87
	s_delay_alu instid0(VALU_DEP_1)
	v_and_b32_e32 v86, 0x3fc, v86
	global_load_b32 v86, v86, s[14:15]
	global_load_b32 v67, v67, s[12:13]
	global_load_b32 v45, v45, s[16:17] scale_offset
	global_load_b32 v83, v83, s[2:3]
	s_wait_loadcnt 0x2
	s_wait_xcnt 0x2
	v_xor_b32_e32 v67, v86, v67
	s_wait_loadcnt 0x0
	s_delay_alu instid0(VALU_DEP_1) | instskip(SKIP_1) | instid1(VALU_DEP_1)
	v_xor3_b32 v67, v67, v83, v45
	v_dual_lshrrev_b32 v45, 22, v90 :: v_dual_lshrrev_b32 v83, 14, v92
	v_and_b32_e32 v45, 0x3fc, v45
	s_delay_alu instid0(VALU_DEP_2)
	v_and_b32_e32 v83, 0x3fc, v83
	global_load_b32 v45, v45, s[14:15]
	global_load_b32 v83, v83, s[12:13]
	s_wait_loadcnt 0x0
	v_xor_b32_e32 v45, v45, v83
	v_xor_b32_e32 v83, v63, v43
	s_delay_alu instid0(VALU_DEP_1) | instskip(NEXT) | instid1(VALU_DEP_1)
	v_lshrrev_b32_e32 v86, 6, v83
	v_and_b32_e32 v86, 0x3fc, v86
	global_load_b32 v58, v58, s[16:17] scale_offset
	global_load_b32 v86, v86, s[2:3]
	s_wait_loadcnt 0x0
	v_xor3_b32 v86, v45, v86, v58
	v_dual_lshrrev_b32 v45, 22, v92 :: v_dual_lshrrev_b32 v58, 14, v83
	s_delay_alu instid0(VALU_DEP_1) | instskip(NEXT) | instid1(VALU_DEP_2)
	v_and_b32_e32 v45, 0x3fc, v45
	v_and_b32_e32 v58, 0x3fc, v58
	global_load_b32 v45, v45, s[14:15]
	global_load_b32 v58, v58, s[12:13]
	s_wait_loadcnt 0x0
	v_xor_b32_e32 v45, v45, v58
	v_bitop3_b32 v58, v81, 0xff, v57 bitop3:0x48
	v_lshrrev_b32_e32 v81, 6, v74
	s_delay_alu instid0(VALU_DEP_1)
	v_and_b32_e32 v81, 0x3fc, v81
	global_load_b32 v58, v58, s[16:17] scale_offset
	global_load_b32 v81, v81, s[2:3]
	s_wait_loadcnt 0x0
	v_xor3_b32 v87, v45, v81, v58
	v_dual_lshrrev_b32 v45, 22, v83 :: v_dual_lshrrev_b32 v58, 14, v74
	v_bitop3_b32 v74, v79, 0xff, v21 bitop3:0x48
	s_delay_alu instid0(VALU_DEP_2) | instskip(NEXT) | instid1(VALU_DEP_3)
	v_and_b32_e32 v45, 0x3fc, v45
	v_and_b32_e32 v58, 0x3fc, v58
	global_load_b32 v45, v45, s[14:15]
	global_load_b32 v58, v58, s[12:13]
	s_wait_loadcnt 0x0
	v_xor_b32_e32 v45, v45, v58
	v_lshrrev_b32_e32 v58, 6, v90
	s_delay_alu instid0(VALU_DEP_1)
	v_and_b32_e32 v58, 0x3fc, v58
	global_load_b32 v74, v74, s[16:17] scale_offset
	global_load_b32 v58, v58, s[2:3]
	s_wait_loadcnt 0x0
	v_xor3_b32 v83, v45, v58, v74
	v_xor_b32_e32 v58, v44, v28
	s_delay_alu instid0(VALU_DEP_1) | instskip(NEXT) | instid1(VALU_DEP_1)
	v_xor_b32_e32 v45, v58, v52
	v_dual_lshrrev_b32 v74, 22, v45 :: v_dual_lshrrev_b32 v79, 14, v45
	s_delay_alu instid0(VALU_DEP_1) | instskip(NEXT) | instid1(VALU_DEP_2)
	v_and_b32_e32 v74, 0x3fc, v74
	v_and_b32_e32 v79, 0x3fc, v79
	global_load_b32 v74, v74, s[2:3]
	global_load_b32 v79, v79, s[16:17]
	s_wait_loadcnt 0x0
	v_perm_b32 v74, v79, v74, 0x70c0c00
	v_lshrrev_b32_e32 v79, 6, v45
	v_bitop3_b32 v81, v58, 0xff, v52 bitop3:0x48
	s_delay_alu instid0(VALU_DEP_2)
	v_and_b32_e32 v79, 0x3fc, v79
	global_load_b32 v81, v81, s[12:13] scale_offset
	global_load_b32 v79, v79, s[14:15]
	s_clause 0x1
	global_load_b32 v65, v65, s[16:17] scale_offset
	global_load_b32 v62, v62, s[16:17] scale_offset
	s_wait_loadcnt 0x3
	s_wait_xcnt 0x3
	v_and_b32_e32 v81, 0xff00, v81
	s_wait_loadcnt 0x2
	s_wait_xcnt 0x2
	v_and_b32_e32 v79, 0xff0000, v79
	s_wait_loadcnt 0x1
	s_wait_xcnt 0x1
	v_xor3_b32 v65, v68, v65, v29
	s_wait_loadcnt 0x0
	v_xor3_b32 v62, v80, v62, v30
	v_or3_b32 v74, v74, v79, v81
	s_delay_alu instid0(VALU_DEP_2)
	v_xor_b32_e32 v81, v62, v58
	v_xor_b32_e32 v68, v65, v44
	;; [unrolled: 1-line block ×3, first 2 shown]
	v_bitop3_b32 v65, v65, 0xff, v44 bitop3:0x48
	v_bitop3_b32 v62, v62, 0xff, v58 bitop3:0x48
	v_xor3_b32 v74, v73, v74, 0x7f000000
	s_delay_alu instid0(VALU_DEP_4) | instskip(SKIP_2) | instid1(VALU_DEP_4)
	v_dual_lshrrev_b32 v79, 22, v68 :: v_dual_lshrrev_b32 v80, 14, v90
	v_bitop3_b32 v91, v66, 0xff, v45 bitop3:0x48
	v_xor_b32_e32 v66, v66, v45
	v_xor_b32_e32 v73, v74, v57
	s_delay_alu instid0(VALU_DEP_4)
	v_and_b32_e32 v79, 0x3fc, v79
	v_and_b32_e32 v80, 0x3fc, v80
	global_load_b32 v79, v79, s[2:3]
	global_load_b32 v80, v80, s[16:17]
	s_wait_loadcnt 0x0
	v_perm_b32 v79, v79, v80, 0x7020c0c
	v_lshrrev_b32_e32 v80, 6, v81
	s_delay_alu instid0(VALU_DEP_1)
	v_and_b32_e32 v80, 0x3fc, v80
	global_load_b32 v91, v91, s[12:13] scale_offset
	global_load_b32 v80, v80, s[14:15]
	s_wait_loadcnt 0x1
	s_wait_xcnt 0x1
	v_and_b32_e32 v91, 0xff, v91
	s_wait_loadcnt 0x0
	v_and_b32_e32 v80, 0xff00, v80
	s_delay_alu instid0(VALU_DEP_1) | instskip(SKIP_1) | instid1(VALU_DEP_2)
	v_or3_b32 v79, v79, v80, v91
	v_dual_lshrrev_b32 v91, 14, v81 :: v_dual_lshrrev_b32 v80, 22, v90
	v_xor3_b32 v69, v79, v74, v69
	s_delay_alu instid0(VALU_DEP_2) | instskip(NEXT) | instid1(VALU_DEP_3)
	v_and_b32_e32 v91, 0x3fc, v91
	v_and_b32_e32 v80, 0x3fc, v80
	global_load_b32 v80, v80, s[2:3]
	global_load_b32 v91, v91, s[16:17]
	s_wait_loadcnt 0x0
	v_perm_b32 v80, v80, v91, 0x7020c0c
	v_lshrrev_b32_e32 v91, 6, v66
	s_delay_alu instid0(VALU_DEP_1)
	v_and_b32_e32 v91, 0x3fc, v91
	global_load_b32 v65, v65, s[12:13] scale_offset
	global_load_b32 v91, v91, s[14:15]
	s_wait_loadcnt 0x1
	s_wait_xcnt 0x1
	v_and_b32_e32 v65, 0xff, v65
	s_wait_loadcnt 0x0
	v_and_b32_e32 v91, 0xff00, v91
	s_delay_alu instid0(VALU_DEP_1) | instskip(SKIP_1) | instid1(VALU_DEP_2)
	v_or3_b32 v80, v80, v91, v65
	v_dual_lshrrev_b32 v65, 22, v81 :: v_dual_lshrrev_b32 v81, 14, v66
	v_xor3_b32 v70, v80, v73, v70
	s_delay_alu instid0(VALU_DEP_2) | instskip(NEXT) | instid1(VALU_DEP_3)
	v_and_b32_e32 v65, 0x3fc, v65
	v_and_b32_e32 v81, 0x3fc, v81
	global_load_b32 v65, v65, s[2:3]
	global_load_b32 v81, v81, s[16:17]
	s_wait_loadcnt 0x0
	v_perm_b32 v65, v65, v81, 0x7020c0c
	v_bitop3_b32 v81, v82, 0xff, v58 bitop3:0x48
	v_lshrrev_b32_e32 v82, 6, v68
	s_delay_alu instid0(VALU_DEP_1)
	v_and_b32_e32 v82, 0x3fc, v82
	global_load_b32 v81, v81, s[12:13] scale_offset
	global_load_b32 v82, v82, s[14:15]
	s_wait_loadcnt 0x1
	s_wait_xcnt 0x1
	v_and_b32_e32 v81, 0xff, v81
	s_wait_loadcnt 0x0
	v_and_b32_e32 v82, 0xff00, v82
	s_delay_alu instid0(VALU_DEP_1) | instskip(SKIP_2) | instid1(VALU_DEP_3)
	v_or3_b32 v81, v65, v82, v81
	v_dual_lshrrev_b32 v65, 22, v66 :: v_dual_lshrrev_b32 v66, 14, v68
	v_xor_b32_e32 v68, v84, v58
	v_xor3_b32 v81, v21, v81, v73
	s_delay_alu instid0(VALU_DEP_3) | instskip(NEXT) | instid1(VALU_DEP_4)
	v_and_b32_e32 v65, 0x3fc, v65
	v_and_b32_e32 v66, 0x3fc, v66
	global_load_b32 v65, v65, s[2:3]
	global_load_b32 v66, v66, s[16:17]
	s_wait_loadcnt 0x0
	v_perm_b32 v65, v65, v66, 0x7020c0c
	v_lshrrev_b32_e32 v66, 6, v90
	s_delay_alu instid0(VALU_DEP_1)
	v_and_b32_e32 v66, 0x3fc, v66
	global_load_b32 v62, v62, s[12:13] scale_offset
	global_load_b32 v66, v66, s[14:15]
	global_load_b32 v61, v61, s[16:17] scale_offset
	s_wait_loadcnt 0x2
	s_wait_xcnt 0x2
	v_and_b32_e32 v62, 0xff, v62
	s_wait_loadcnt 0x1
	s_wait_xcnt 0x1
	v_and_b32_e32 v66, 0xff00, v66
	s_wait_loadcnt 0x0
	v_xor3_b32 v61, v88, v61, v30
	v_bitop3_b32 v88, v67, 0xff, v45 bitop3:0x48
	s_delay_alu instid0(VALU_DEP_3)
	v_or3_b32 v82, v65, v66, v62
	v_bitop3_b32 v62, v64, 0xff, v43 bitop3:0x48
	global_load_b32 v62, v62, s[16:17] scale_offset
	s_wait_loadcnt 0x0
	v_xor3_b32 v62, v85, v62, v29
	v_dual_lshrrev_b32 v66, 14, v68 :: v_dual_bitop2_b32 v85, v61, v58 bitop3:0x14
	v_bitop3_b32 v61, v61, 0xff, v58 bitop3:0x48
	s_delay_alu instid0(VALU_DEP_3) | instskip(SKIP_1) | instid1(VALU_DEP_4)
	v_xor_b32_e32 v64, v62, v44
	v_bitop3_b32 v62, v62, 0xff, v44 bitop3:0x48
	v_and_b32_e32 v66, 0x3fc, v66
	s_delay_alu instid0(VALU_DEP_3) | instskip(NEXT) | instid1(VALU_DEP_1)
	v_lshrrev_b32_e32 v65, 22, v64
	v_and_b32_e32 v65, 0x3fc, v65
	global_load_b32 v65, v65, s[2:3]
	global_load_b32 v66, v66, s[16:17]
	s_wait_loadcnt 0x0
	v_perm_b32 v65, v65, v66, 0x7020c0c
	v_lshrrev_b32_e32 v66, 6, v85
	s_delay_alu instid0(VALU_DEP_1)
	v_and_b32_e32 v66, 0x3fc, v66
	global_load_b32 v88, v88, s[12:13] scale_offset
	global_load_b32 v66, v66, s[14:15]
	s_wait_loadcnt 0x1
	s_wait_xcnt 0x1
	v_and_b32_e32 v88, 0xff, v88
	s_wait_loadcnt 0x0
	v_and_b32_e32 v66, 0xff00, v66
	s_delay_alu instid0(VALU_DEP_1) | instskip(SKIP_1) | instid1(VALU_DEP_2)
	v_or3_b32 v65, v65, v66, v88
	v_dual_lshrrev_b32 v66, 22, v68 :: v_dual_lshrrev_b32 v88, 14, v85
	v_xor3_b32 v5, v65, v74, v5
	s_delay_alu instid0(VALU_DEP_2) | instskip(NEXT) | instid1(VALU_DEP_3)
	v_and_b32_e32 v66, 0x3fc, v66
	v_and_b32_e32 v88, 0x3fc, v88
	global_load_b32 v66, v66, s[2:3]
	global_load_b32 v88, v88, s[16:17]
	s_wait_loadcnt 0x0
	v_perm_b32 v66, v66, v88, 0x7020c0c
	v_xor_b32_e32 v88, v67, v45
	s_delay_alu instid0(VALU_DEP_1) | instskip(NEXT) | instid1(VALU_DEP_1)
	v_lshrrev_b32_e32 v67, 6, v88
	v_and_b32_e32 v67, 0x3fc, v67
	global_load_b32 v62, v62, s[12:13] scale_offset
	global_load_b32 v67, v67, s[14:15]
	s_wait_loadcnt 0x1
	s_wait_xcnt 0x1
	v_and_b32_e32 v62, 0xff, v62
	s_wait_loadcnt 0x0
	v_and_b32_e32 v67, 0xff00, v67
	s_delay_alu instid0(VALU_DEP_1) | instskip(SKIP_1) | instid1(VALU_DEP_2)
	v_or3_b32 v66, v66, v67, v62
	v_dual_lshrrev_b32 v62, 22, v85 :: v_dual_lshrrev_b32 v67, 14, v88
	v_xor3_b32 v4, v66, v73, v4
	s_delay_alu instid0(VALU_DEP_2) | instskip(NEXT) | instid1(VALU_DEP_3)
	v_and_b32_e32 v62, 0x3fc, v62
	v_and_b32_e32 v67, 0x3fc, v67
	global_load_b32 v62, v62, s[2:3]
	global_load_b32 v67, v67, s[16:17]
	s_wait_loadcnt 0x0
	v_perm_b32 v62, v62, v67, 0x7020c0c
	v_bitop3_b32 v67, v84, 0xff, v58 bitop3:0x48
	v_dual_lshrrev_b32 v84, 6, v64 :: v_dual_lshrrev_b32 v64, 14, v64
	s_delay_alu instid0(VALU_DEP_1)
	v_and_b32_e32 v84, 0x3fc, v84
	global_load_b32 v67, v67, s[12:13] scale_offset
	global_load_b32 v84, v84, s[14:15]
	v_and_b32_e32 v64, 0x3fc, v64
	s_wait_loadcnt 0x1
	s_wait_xcnt 0x1
	v_and_b32_e32 v67, 0xff, v67
	s_wait_loadcnt 0x0
	v_and_b32_e32 v84, 0xff00, v84
	s_delay_alu instid0(VALU_DEP_1) | instskip(SKIP_1) | instid1(VALU_DEP_2)
	v_or3_b32 v67, v62, v84, v67
	v_lshrrev_b32_e32 v62, 22, v88
	v_xor3_b32 v67, v21, v67, v73
	s_delay_alu instid0(VALU_DEP_2)
	v_and_b32_e32 v62, 0x3fc, v62
	global_load_b32 v62, v62, s[2:3]
	global_load_b32 v64, v64, s[16:17]
	s_wait_loadcnt 0x0
	v_perm_b32 v62, v62, v64, 0x7020c0c
	v_lshrrev_b32_e32 v64, 6, v68
	s_delay_alu instid0(VALU_DEP_1)
	v_and_b32_e32 v64, 0x3fc, v64
	global_load_b32 v61, v61, s[12:13] scale_offset
	global_load_b32 v64, v64, s[14:15]
	s_wait_loadcnt 0x1
	s_wait_xcnt 0x1
	v_and_b32_e32 v61, 0xff, v61
	s_wait_loadcnt 0x0
	v_and_b32_e32 v64, 0xff00, v64
	s_delay_alu instid0(VALU_DEP_1) | instskip(SKIP_4) | instid1(VALU_DEP_1)
	v_or3_b32 v68, v62, v64, v61
	v_bitop3_b32 v61, v63, 0xff, v43 bitop3:0x48
	v_xor_b32_e32 v63, v86, v58
	global_load_b32 v61, v61, s[16:17] scale_offset
	v_dual_lshrrev_b32 v84, 14, v63 :: v_dual_lshrrev_b32 v63, 22, v63
	v_and_b32_e32 v84, 0x3fc, v84
	s_delay_alu instid0(VALU_DEP_2) | instskip(SKIP_2) | instid1(VALU_DEP_1)
	v_and_b32_e32 v63, 0x3fc, v63
	s_wait_loadcnt 0x0
	v_xor3_b32 v61, v89, v61, v29
	v_xor_b32_e32 v64, v61, v44
	v_bitop3_b32 v61, v61, 0xff, v44 bitop3:0x48
	s_delay_alu instid0(VALU_DEP_2) | instskip(NEXT) | instid1(VALU_DEP_1)
	v_dual_lshrrev_b32 v62, 22, v64 :: v_dual_lshrrev_b32 v64, 6, v64
	v_and_b32_e32 v62, 0x3fc, v62
	global_load_b32 v62, v62, s[2:3]
	global_load_b32 v84, v84, s[16:17]
	v_and_b32_e32 v64, 0x3fc, v64
	s_wait_loadcnt 0x0
	v_perm_b32 v62, v62, v84, 0x7020c0c
	v_xor3_b32 v84, v87, v30, v58
	v_bitop3_b32 v87, v83, 0xff, v45 bitop3:0x48
	s_delay_alu instid0(VALU_DEP_2) | instskip(NEXT) | instid1(VALU_DEP_1)
	v_dual_lshrrev_b32 v85, 6, v84 :: v_dual_bitop2_b32 v83, v83, v45 bitop3:0x14
	v_and_b32_e32 v85, 0x3fc, v85
	global_load_b32 v87, v87, s[12:13] scale_offset
	global_load_b32 v85, v85, s[14:15]
	s_wait_loadcnt 0x1
	s_wait_xcnt 0x1
	v_and_b32_e32 v87, 0xff, v87
	s_wait_loadcnt 0x0
	v_and_b32_e32 v85, 0xff00, v85
	s_delay_alu instid0(VALU_DEP_1) | instskip(SKIP_1) | instid1(VALU_DEP_2)
	v_or3_b32 v62, v62, v85, v87
	v_lshrrev_b32_e32 v85, 14, v84
	v_xor3_b32 v2, v62, v74, v2
	s_delay_alu instid0(VALU_DEP_2)
	v_and_b32_e32 v85, 0x3fc, v85
	global_load_b32 v63, v63, s[2:3]
	global_load_b32 v85, v85, s[16:17]
	s_wait_loadcnt 0x0
	v_perm_b32 v63, v63, v85, 0x7020c0c
	v_dual_lshrrev_b32 v85, 6, v83 :: v_dual_lshrrev_b32 v83, 14, v83
	s_delay_alu instid0(VALU_DEP_1)
	v_and_b32_e32 v85, 0x3fc, v85
	global_load_b32 v61, v61, s[12:13] scale_offset
	global_load_b32 v85, v85, s[14:15]
	v_and_b32_e32 v83, 0x3fc, v83
	s_wait_loadcnt 0x1
	s_wait_xcnt 0x1
	v_and_b32_e32 v61, 0xff, v61
	s_wait_loadcnt 0x0
	v_and_b32_e32 v85, 0xff00, v85
	s_delay_alu instid0(VALU_DEP_1) | instskip(SKIP_1) | instid1(VALU_DEP_2)
	v_or3_b32 v63, v63, v85, v61
	v_lshrrev_b32_e32 v61, 22, v84
	v_xor3_b32 v1, v63, v73, v1
	s_delay_alu instid0(VALU_DEP_2)
	v_and_b32_e32 v61, 0x3fc, v61
	global_load_b32 v61, v61, s[2:3]
	global_load_b32 v83, v83, s[16:17]
	s_wait_loadcnt 0x0
	v_perm_b32 v61, v61, v83, 0x7020c0c
	v_bitop3_b32 v83, v86, 0xff, v58 bitop3:0x48
	global_load_b32 v83, v83, s[12:13] scale_offset
	global_load_b32 v64, v64, s[14:15]
	global_load_b32 v59, v59, s[16:17] scale_offset
	s_load_b128 s[4:7], s[34:35], 0x0
	s_wait_kmcnt 0x0
	v_perm_b32 v87, 0, s4, 0x10203
	v_perm_b32 v86, 0, s5, 0x10203
	s_delay_alu instid0(VALU_DEP_2) | instskip(NEXT) | instid1(VALU_DEP_2)
	v_xor_b32_e32 v84, v87, v17
	v_xor_b32_e32 v85, v86, v16
	v_bitop3_b32 v87, v87, 0xff, v17 bitop3:0x48
	v_bitop3_b32 v86, v86, 0xff, v16 bitop3:0x48
	s_delay_alu instid0(VALU_DEP_3) | instskip(NEXT) | instid1(VALU_DEP_1)
	v_lshrrev_b32_e32 v88, 14, v85
	v_and_b32_e32 v88, 0x3fc, v88
	s_wait_loadcnt 0x2
	v_and_b32_e32 v83, 0xff, v83
	s_wait_loadcnt 0x1
	v_and_b32_e32 v64, 0xff00, v64
	s_delay_alu instid0(VALU_DEP_1) | instskip(SKIP_2) | instid1(VALU_DEP_1)
	v_or3_b32 v64, v61, v64, v83
	s_wait_loadcnt 0x0
	v_xor3_b32 v61, v60, v59, v8
	v_dual_lshrrev_b32 v83, 22, v84 :: v_dual_bitop2_b32 v60, v61, v35 bitop3:0x14
	s_delay_alu instid0(VALU_DEP_1) | instskip(NEXT) | instid1(VALU_DEP_2)
	v_and_b32_e32 v83, 0x3fc, v83
	v_lshrrev_b32_e32 v59, 6, v60
	s_delay_alu instid0(VALU_DEP_1)
	v_and_b32_e32 v59, 0x3fc, v59
	global_load_b32 v59, v59, s[2:3]
	global_load_b32 v83, v83, s[14:15]
	;; [unrolled: 1-line block ×3, first 2 shown]
	s_wait_loadcnt 0x0
	v_xor_b32_e32 v88, v83, v88
	v_perm_b32 v83, 0, s6, 0x10203
	s_delay_alu instid0(VALU_DEP_1) | instskip(SKIP_1) | instid1(VALU_DEP_2)
	v_xor_b32_e32 v89, v83, v19
	v_bitop3_b32 v83, v83, 0xff, v19 bitop3:0x48
	v_lshrrev_b32_e32 v90, 6, v89
	s_delay_alu instid0(VALU_DEP_1) | instskip(SKIP_1) | instid1(VALU_DEP_1)
	v_and_b32_e32 v91, 0x3fc, v90
	v_perm_b32 v90, 0, s7, 0x10203
	v_bitop3_b32 v92, v90, 0xff, v18 bitop3:0x48
	global_load_b32 v92, v92, s[16:17] scale_offset
	global_load_b32 v91, v91, s[2:3]
	v_xor_b32_e32 v90, v90, v18
	s_wait_loadcnt 0x0
	v_xor3_b32 v88, v88, v91, v92
	v_lshrrev_b32_e32 v91, 22, v85
	v_lshrrev_b32_e32 v92, 14, v89
	v_lshrrev_b32_e32 v85, 6, v85
	s_delay_alu instid0(VALU_DEP_3) | instskip(NEXT) | instid1(VALU_DEP_3)
	v_and_b32_e32 v91, 0x3fc, v91
	v_and_b32_e32 v92, 0x3fc, v92
	global_load_b32 v91, v91, s[14:15]
	global_load_b32 v92, v92, s[12:13]
	v_and_b32_e32 v85, 0x3fc, v85
	s_wait_loadcnt 0x0
	v_dual_lshrrev_b32 v92, 6, v90 :: v_dual_bitop2_b32 v91, v91, v92 bitop3:0x14
	s_delay_alu instid0(VALU_DEP_1)
	v_and_b32_e32 v92, 0x3fc, v92
	global_load_b32 v87, v87, s[16:17] scale_offset
	global_load_b32 v92, v92, s[2:3]
	s_wait_loadcnt 0x0
	v_xor3_b32 v87, v91, v92, v87
	v_dual_lshrrev_b32 v91, 14, v90 :: v_dual_lshrrev_b32 v89, 22, v89
	s_delay_alu instid0(VALU_DEP_1) | instskip(NEXT) | instid1(VALU_DEP_2)
	v_and_b32_e32 v91, 0x3fc, v91
	v_and_b32_e32 v89, 0x3fc, v89
	global_load_b32 v89, v89, s[14:15]
	global_load_b32 v91, v91, s[12:13]
	s_wait_loadcnt 0x0
	v_dual_lshrrev_b32 v91, 6, v84 :: v_dual_bitop2_b32 v89, v89, v91 bitop3:0x14
	v_lshrrev_b32_e32 v84, 14, v84
	s_delay_alu instid0(VALU_DEP_2)
	v_and_b32_e32 v91, 0x3fc, v91
	global_load_b32 v86, v86, s[16:17] scale_offset
	global_load_b32 v91, v91, s[2:3]
	v_and_b32_e32 v84, 0x3fc, v84
	s_wait_loadcnt 0x0
	v_xor3_b32 v86, v89, v91, v86
	v_lshrrev_b32_e32 v89, 22, v90
	s_delay_alu instid0(VALU_DEP_1)
	v_and_b32_e32 v89, 0x3fc, v89
	global_load_b32 v89, v89, s[14:15]
	global_load_b32 v84, v84, s[12:13]
	global_load_b32 v83, v83, s[16:17] scale_offset
	global_load_b32 v85, v85, s[2:3]
	s_wait_loadcnt 0x2
	s_wait_xcnt 0x2
	v_xor_b32_e32 v84, v89, v84
	v_xor_b32_e32 v89, v87, v13
	v_bitop3_b32 v87, v87, 0xff, v13 bitop3:0x48
	s_wait_loadcnt 0x0
	s_delay_alu instid0(VALU_DEP_3) | instskip(NEXT) | instid1(VALU_DEP_3)
	v_xor3_b32 v83, v84, v85, v83
	v_dual_lshrrev_b32 v90, 14, v89 :: v_dual_bitop2_b32 v84, v88, v15 bitop3:0x14
	v_bitop3_b32 v88, v88, 0xff, v15 bitop3:0x48
	s_delay_alu instid0(VALU_DEP_3) | instskip(NEXT) | instid1(VALU_DEP_3)
	v_bitop3_b32 v92, v83, 0xff, v12 bitop3:0x48
	v_lshrrev_b32_e32 v85, 22, v84
	s_delay_alu instid0(VALU_DEP_4) | instskip(SKIP_1) | instid1(VALU_DEP_3)
	v_and_b32_e32 v90, 0x3fc, v90
	v_xor_b32_e32 v83, v83, v12
	v_and_b32_e32 v85, 0x3fc, v85
	global_load_b32 v85, v85, s[14:15]
	global_load_b32 v90, v90, s[12:13]
	s_wait_loadcnt 0x0
	v_xor_b32_e32 v85, v85, v90
	v_xor_b32_e32 v90, v86, v14
	v_bitop3_b32 v86, v86, 0xff, v14 bitop3:0x48
	s_delay_alu instid0(VALU_DEP_2) | instskip(NEXT) | instid1(VALU_DEP_1)
	v_lshrrev_b32_e32 v91, 6, v90
	v_and_b32_e32 v91, 0x3fc, v91
	global_load_b32 v92, v92, s[16:17] scale_offset
	global_load_b32 v91, v91, s[2:3]
	s_wait_loadcnt 0x0
	v_xor3_b32 v85, v85, v91, v92
	v_dual_lshrrev_b32 v91, 22, v89 :: v_dual_lshrrev_b32 v92, 14, v90
	v_lshrrev_b32_e32 v90, 22, v90
	s_delay_alu instid0(VALU_DEP_2) | instskip(NEXT) | instid1(VALU_DEP_3)
	v_and_b32_e32 v91, 0x3fc, v91
	v_and_b32_e32 v92, 0x3fc, v92
	global_load_b32 v91, v91, s[14:15]
	global_load_b32 v92, v92, s[12:13]
	s_wait_loadcnt 0x0
	v_dual_lshrrev_b32 v92, 6, v83 :: v_dual_bitop2_b32 v91, v91, v92 bitop3:0x14
	s_delay_alu instid0(VALU_DEP_1)
	v_and_b32_e32 v92, 0x3fc, v92
	global_load_b32 v88, v88, s[16:17] scale_offset
	global_load_b32 v92, v92, s[2:3]
	s_wait_loadcnt 0x0
	v_xor3_b32 v88, v91, v92, v88
	v_lshrrev_b32_e32 v91, 14, v83
	v_and_b32_e32 v90, 0x3fc, v90
	v_lshrrev_b32_e32 v83, 22, v83
	s_delay_alu instid0(VALU_DEP_3)
	v_and_b32_e32 v91, 0x3fc, v91
	global_load_b32 v90, v90, s[14:15]
	global_load_b32 v91, v91, s[12:13]
	s_wait_loadcnt 0x0
	v_dual_lshrrev_b32 v91, 6, v84 :: v_dual_bitop2_b32 v90, v90, v91 bitop3:0x14
	v_lshrrev_b32_e32 v84, 14, v84
	v_and_b32_e32 v83, 0x3fc, v83
	s_delay_alu instid0(VALU_DEP_3) | instskip(NEXT) | instid1(VALU_DEP_3)
	v_and_b32_e32 v91, 0x3fc, v91
	v_and_b32_e32 v84, 0x3fc, v84
	global_load_b32 v87, v87, s[16:17] scale_offset
	global_load_b32 v91, v91, s[2:3]
	global_load_b32 v83, v83, s[14:15]
	;; [unrolled: 1-line block ×3, first 2 shown]
	s_wait_loadcnt 0x2
	s_wait_xcnt 0x3
	v_xor3_b32 v87, v90, v91, v87
	s_wait_loadcnt 0x0
	v_dual_lshrrev_b32 v84, 6, v89 :: v_dual_bitop2_b32 v83, v83, v84 bitop3:0x14
	s_delay_alu instid0(VALU_DEP_1) | instskip(SKIP_4) | instid1(VALU_DEP_1)
	v_and_b32_e32 v84, 0x3fc, v84
	global_load_b32 v86, v86, s[16:17] scale_offset
	global_load_b32 v84, v84, s[2:3]
	s_wait_loadcnt 0x0
	v_xor3_b32 v83, v83, v84, v86
	v_bitop3_b32 v92, v83, 0xff, v24 bitop3:0x48
	v_xor_b32_e32 v83, v83, v24
	v_xor_b32_e32 v89, v88, v10
	;; [unrolled: 1-line block ×3, first 2 shown]
	v_bitop3_b32 v85, v85, 0xff, v22 bitop3:0x48
	v_bitop3_b32 v88, v88, 0xff, v10 bitop3:0x48
	s_delay_alu instid0(VALU_DEP_3) | instskip(NEXT) | instid1(VALU_DEP_1)
	v_dual_lshrrev_b32 v90, 14, v89 :: v_dual_lshrrev_b32 v86, 22, v84
	v_and_b32_e32 v90, 0x3fc, v90
	s_delay_alu instid0(VALU_DEP_2)
	v_and_b32_e32 v86, 0x3fc, v86
	global_load_b32 v86, v86, s[14:15]
	global_load_b32 v90, v90, s[12:13]
	s_wait_loadcnt 0x0
	v_xor_b32_e32 v86, v86, v90
	v_xor_b32_e32 v90, v87, v20
	v_bitop3_b32 v87, v87, 0xff, v20 bitop3:0x48
	s_delay_alu instid0(VALU_DEP_2) | instskip(NEXT) | instid1(VALU_DEP_1)
	v_lshrrev_b32_e32 v91, 6, v90
	v_and_b32_e32 v91, 0x3fc, v91
	global_load_b32 v92, v92, s[16:17] scale_offset
	global_load_b32 v91, v91, s[2:3]
	s_wait_loadcnt 0x0
	v_xor3_b32 v86, v86, v91, v92
	v_dual_lshrrev_b32 v91, 22, v89 :: v_dual_lshrrev_b32 v92, 14, v90
	s_delay_alu instid0(VALU_DEP_1) | instskip(NEXT) | instid1(VALU_DEP_2)
	v_and_b32_e32 v91, 0x3fc, v91
	v_and_b32_e32 v92, 0x3fc, v92
	global_load_b32 v91, v91, s[14:15]
	global_load_b32 v92, v92, s[12:13]
	s_wait_loadcnt 0x0
	v_dual_lshrrev_b32 v92, 6, v83 :: v_dual_bitop2_b32 v91, v91, v92 bitop3:0x14
	s_delay_alu instid0(VALU_DEP_1)
	v_and_b32_e32 v92, 0x3fc, v92
	global_load_b32 v85, v85, s[16:17] scale_offset
	global_load_b32 v92, v92, s[2:3]
	s_wait_loadcnt 0x0
	v_xor3_b32 v85, v91, v92, v85
	v_dual_lshrrev_b32 v91, 14, v83 :: v_dual_lshrrev_b32 v90, 22, v90
	v_lshrrev_b32_e32 v83, 22, v83
	s_delay_alu instid0(VALU_DEP_2) | instskip(NEXT) | instid1(VALU_DEP_3)
	v_and_b32_e32 v91, 0x3fc, v91
	v_and_b32_e32 v90, 0x3fc, v90
	global_load_b32 v90, v90, s[14:15]
	global_load_b32 v91, v91, s[12:13]
	v_and_b32_e32 v83, 0x3fc, v83
	s_wait_loadcnt 0x0
	v_dual_lshrrev_b32 v91, 6, v84 :: v_dual_bitop2_b32 v90, v90, v91 bitop3:0x14
	v_lshrrev_b32_e32 v84, 14, v84
	s_delay_alu instid0(VALU_DEP_2) | instskip(NEXT) | instid1(VALU_DEP_2)
	v_and_b32_e32 v91, 0x3fc, v91
	v_and_b32_e32 v84, 0x3fc, v84
	global_load_b32 v88, v88, s[16:17] scale_offset
	global_load_b32 v91, v91, s[2:3]
	global_load_b32 v83, v83, s[14:15]
	;; [unrolled: 1-line block ×3, first 2 shown]
	s_wait_loadcnt 0x2
	s_wait_xcnt 0x3
	v_xor3_b32 v88, v90, v91, v88
	s_wait_loadcnt 0x0
	v_dual_lshrrev_b32 v84, 6, v89 :: v_dual_bitop2_b32 v83, v83, v84 bitop3:0x14
	v_xor_b32_e32 v89, v85, v33
	v_bitop3_b32 v85, v85, 0xff, v33 bitop3:0x48
	s_delay_alu instid0(VALU_DEP_3) | instskip(SKIP_3) | instid1(VALU_DEP_1)
	v_and_b32_e32 v84, 0x3fc, v84
	global_load_b32 v87, v87, s[16:17] scale_offset
	global_load_b32 v84, v84, s[2:3]
	v_lshrrev_b32_e32 v90, 14, v89
	v_and_b32_e32 v90, 0x3fc, v90
	s_wait_loadcnt 0x0
	v_xor3_b32 v83, v83, v84, v87
	v_xor_b32_e32 v84, v86, v26
	v_bitop3_b32 v86, v86, 0xff, v26 bitop3:0x48
	s_delay_alu instid0(VALU_DEP_3) | instskip(NEXT) | instid1(VALU_DEP_3)
	v_bitop3_b32 v92, v83, 0xff, v34 bitop3:0x48
	v_dual_lshrrev_b32 v87, 22, v84 :: v_dual_bitop2_b32 v83, v83, v34 bitop3:0x14
	s_delay_alu instid0(VALU_DEP_1)
	v_and_b32_e32 v87, 0x3fc, v87
	global_load_b32 v87, v87, s[14:15]
	global_load_b32 v90, v90, s[12:13]
	s_wait_loadcnt 0x0
	v_xor_b32_e32 v87, v87, v90
	v_xor_b32_e32 v90, v88, v9
	v_bitop3_b32 v88, v88, 0xff, v9 bitop3:0x48
	s_delay_alu instid0(VALU_DEP_2) | instskip(NEXT) | instid1(VALU_DEP_1)
	v_lshrrev_b32_e32 v91, 6, v90
	v_and_b32_e32 v91, 0x3fc, v91
	global_load_b32 v92, v92, s[16:17] scale_offset
	global_load_b32 v91, v91, s[2:3]
	s_wait_loadcnt 0x0
	v_xor3_b32 v87, v87, v91, v92
	v_dual_lshrrev_b32 v91, 22, v89 :: v_dual_lshrrev_b32 v92, 14, v90
	s_delay_alu instid0(VALU_DEP_1) | instskip(NEXT) | instid1(VALU_DEP_2)
	v_and_b32_e32 v91, 0x3fc, v91
	v_and_b32_e32 v92, 0x3fc, v92
	global_load_b32 v91, v91, s[14:15]
	global_load_b32 v92, v92, s[12:13]
	s_wait_loadcnt 0x0
	v_dual_lshrrev_b32 v92, 6, v83 :: v_dual_bitop2_b32 v91, v91, v92 bitop3:0x14
	v_lshrrev_b32_e32 v90, 22, v90
	s_delay_alu instid0(VALU_DEP_2)
	v_and_b32_e32 v92, 0x3fc, v92
	global_load_b32 v86, v86, s[16:17] scale_offset
	global_load_b32 v92, v92, s[2:3]
	v_and_b32_e32 v90, 0x3fc, v90
	s_wait_loadcnt 0x0
	v_xor3_b32 v86, v91, v92, v86
	v_lshrrev_b32_e32 v91, 14, v83
	s_delay_alu instid0(VALU_DEP_1)
	v_and_b32_e32 v91, 0x3fc, v91
	global_load_b32 v90, v90, s[14:15]
	global_load_b32 v91, v91, s[12:13]
	s_wait_loadcnt 0x0
	v_dual_lshrrev_b32 v91, 6, v84 :: v_dual_bitop2_b32 v90, v90, v91 bitop3:0x14
	v_dual_lshrrev_b32 v83, 22, v83 :: v_dual_lshrrev_b32 v84, 14, v84
	s_delay_alu instid0(VALU_DEP_2) | instskip(NEXT) | instid1(VALU_DEP_2)
	v_and_b32_e32 v91, 0x3fc, v91
	v_and_b32_e32 v83, 0x3fc, v83
	s_delay_alu instid0(VALU_DEP_3)
	v_and_b32_e32 v84, 0x3fc, v84
	global_load_b32 v85, v85, s[16:17] scale_offset
	global_load_b32 v91, v91, s[2:3]
	global_load_b32 v83, v83, s[14:15]
	;; [unrolled: 1-line block ×3, first 2 shown]
	s_wait_loadcnt 0x2
	s_wait_xcnt 0x3
	v_xor3_b32 v85, v90, v91, v85
	v_xor_b32_e32 v91, v87, v31
	s_wait_loadcnt 0x0
	v_dual_lshrrev_b32 v84, 6, v89 :: v_dual_bitop2_b32 v83, v83, v84 bitop3:0x14
	v_bitop3_b32 v87, v87, 0xff, v31 bitop3:0x48
	s_delay_alu instid0(VALU_DEP_3) | instskip(NEXT) | instid1(VALU_DEP_3)
	v_lshrrev_b32_e32 v92, 6, v91
	v_and_b32_e32 v84, 0x3fc, v84
	global_load_b32 v88, v88, s[16:17] scale_offset
	global_load_b32 v84, v84, s[2:3]
	v_and_b32_e32 v92, 0x3fc, v92
	s_wait_loadcnt 0x0
	v_xor3_b32 v83, v83, v84, v88
	s_delay_alu instid0(VALU_DEP_1) | instskip(SKIP_3) | instid1(VALU_DEP_3)
	v_xor_b32_e32 v89, v83, v32
	v_xor_b32_e32 v84, v85, v8
	v_bitop3_b32 v83, v83, 0xff, v32 bitop3:0x48
	v_bitop3_b32 v85, v85, 0xff, v8 bitop3:0x48
	v_dual_lshrrev_b32 v90, 14, v89 :: v_dual_lshrrev_b32 v88, 22, v84
	s_delay_alu instid0(VALU_DEP_1) | instskip(NEXT) | instid1(VALU_DEP_2)
	v_and_b32_e32 v90, 0x3fc, v90
	v_and_b32_e32 v88, 0x3fc, v88
	global_load_b32 v88, v88, s[14:15]
	global_load_b32 v90, v90, s[12:13]
	;; [unrolled: 1-line block ×3, first 2 shown]
	s_wait_loadcnt 0x0
	v_xor3_b32 v88, v88, v90, v92
	v_xor_b32_e32 v92, v86, v47
	v_lshrrev_b32_e32 v90, 22, v91
	v_bitop3_b32 v86, v86, 0xff, v47 bitop3:0x48
	s_delay_alu instid0(VALU_DEP_3) | instskip(NEXT) | instid1(VALU_DEP_3)
	v_lshrrev_b32_e32 v93, 14, v92
	v_and_b32_e32 v90, 0x3fc, v90
	s_delay_alu instid0(VALU_DEP_2)
	v_and_b32_e32 v93, 0x3fc, v93
	global_load_b32 v90, v90, s[14:15]
	global_load_b32 v93, v93, s[12:13]
	s_wait_loadcnt 0x0
	v_dual_lshrrev_b32 v93, 6, v84 :: v_dual_bitop2_b32 v90, v90, v93 bitop3:0x14
	v_lshrrev_b32_e32 v84, 14, v84
	s_delay_alu instid0(VALU_DEP_2)
	v_and_b32_e32 v93, 0x3fc, v93
	global_load_b32 v83, v83, s[16:17] scale_offset
	global_load_b32 v93, v93, s[2:3]
	v_and_b32_e32 v84, 0x3fc, v84
	s_wait_loadcnt 0x0
	v_xor3_b32 v83, v90, v93, v83
	v_lshrrev_b32_e32 v90, 22, v92
	s_delay_alu instid0(VALU_DEP_1) | instskip(SKIP_4) | instid1(VALU_DEP_1)
	v_and_b32_e32 v90, 0x3fc, v90
	global_load_b32 v90, v90, s[14:15]
	global_load_b32 v84, v84, s[12:13]
	s_wait_loadcnt 0x0
	v_dual_lshrrev_b32 v90, 6, v89 :: v_dual_bitop2_b32 v84, v90, v84 bitop3:0x14
	v_and_b32_e32 v90, 0x3fc, v90
	global_load_b32 v87, v87, s[16:17] scale_offset
	global_load_b32 v90, v90, s[2:3]
	s_wait_loadcnt 0x0
	v_xor3_b32 v84, v84, v90, v87
	v_dual_lshrrev_b32 v87, 22, v89 :: v_dual_lshrrev_b32 v89, 14, v91
	v_xor_b32_e32 v91, v83, v49
	v_bitop3_b32 v83, v83, 0xff, v49 bitop3:0x48
	s_delay_alu instid0(VALU_DEP_3) | instskip(NEXT) | instid1(VALU_DEP_4)
	v_and_b32_e32 v87, 0x3fc, v87
	v_and_b32_e32 v89, 0x3fc, v89
	global_load_b32 v87, v87, s[14:15]
	global_load_b32 v89, v89, s[12:13]
	s_wait_loadcnt 0x0
	v_dual_lshrrev_b32 v89, 6, v92 :: v_dual_bitop2_b32 v87, v87, v89 bitop3:0x14
	v_lshrrev_b32_e32 v92, 6, v91
	s_delay_alu instid0(VALU_DEP_2)
	v_and_b32_e32 v89, 0x3fc, v89
	global_load_b32 v85, v85, s[16:17] scale_offset
	global_load_b32 v89, v89, s[2:3]
	global_load_b32 v86, v86, s[16:17] scale_offset
	v_and_b32_e32 v92, 0x3fc, v92
	s_wait_loadcnt 0x1
	s_wait_xcnt 0x2
	v_xor3_b32 v85, v87, v89, v85
	s_wait_loadcnt 0x0
	v_xor3_b32 v86, v88, v86, v9
	s_delay_alu instid0(VALU_DEP_2) | instskip(NEXT) | instid1(VALU_DEP_2)
	v_xor_b32_e32 v89, v85, v46
	v_xor_b32_e32 v87, v86, v25
	v_bitop3_b32 v85, v85, 0xff, v46 bitop3:0x48
	v_bitop3_b32 v86, v86, 0xff, v25 bitop3:0x48
	s_delay_alu instid0(VALU_DEP_3) | instskip(NEXT) | instid1(VALU_DEP_1)
	v_dual_lshrrev_b32 v90, 14, v89 :: v_dual_lshrrev_b32 v88, 22, v87
	v_and_b32_e32 v90, 0x3fc, v90
	s_delay_alu instid0(VALU_DEP_2)
	v_and_b32_e32 v88, 0x3fc, v88
	global_load_b32 v88, v88, s[14:15]
	global_load_b32 v90, v90, s[12:13]
	;; [unrolled: 1-line block ×3, first 2 shown]
	s_wait_loadcnt 0x0
	v_xor3_b32 v88, v88, v90, v92
	v_xor_b32_e32 v92, v84, v25
	v_bitop3_b32 v84, v84, 0xff, v25 bitop3:0x48
	s_delay_alu instid0(VALU_DEP_2) | instskip(NEXT) | instid1(VALU_DEP_1)
	v_dual_lshrrev_b32 v93, 14, v92 :: v_dual_lshrrev_b32 v90, 22, v91
	v_and_b32_e32 v93, 0x3fc, v93
	s_delay_alu instid0(VALU_DEP_2)
	v_and_b32_e32 v90, 0x3fc, v90
	global_load_b32 v90, v90, s[14:15]
	global_load_b32 v93, v93, s[12:13]
	s_wait_loadcnt 0x0
	v_dual_lshrrev_b32 v93, 6, v87 :: v_dual_bitop2_b32 v90, v90, v93 bitop3:0x14
	v_lshrrev_b32_e32 v87, 14, v87
	s_delay_alu instid0(VALU_DEP_2)
	v_and_b32_e32 v93, 0x3fc, v93
	global_load_b32 v85, v85, s[16:17] scale_offset
	global_load_b32 v93, v93, s[2:3]
	v_and_b32_e32 v87, 0x3fc, v87
	s_wait_loadcnt 0x0
	v_xor3_b32 v85, v90, v93, v85
	v_lshrrev_b32_e32 v90, 22, v92
	s_delay_alu instid0(VALU_DEP_1) | instskip(SKIP_4) | instid1(VALU_DEP_1)
	v_and_b32_e32 v90, 0x3fc, v90
	global_load_b32 v90, v90, s[14:15]
	global_load_b32 v87, v87, s[12:13]
	s_wait_loadcnt 0x0
	v_dual_lshrrev_b32 v90, 6, v89 :: v_dual_bitop2_b32 v87, v90, v87 bitop3:0x14
	v_and_b32_e32 v90, 0x3fc, v90
	global_load_b32 v83, v83, s[16:17] scale_offset
	global_load_b32 v90, v90, s[2:3]
	s_wait_loadcnt 0x0
	v_xor3_b32 v83, v87, v90, v83
	v_dual_lshrrev_b32 v87, 22, v89 :: v_dual_lshrrev_b32 v89, 14, v91
	s_delay_alu instid0(VALU_DEP_1) | instskip(NEXT) | instid1(VALU_DEP_2)
	v_and_b32_e32 v87, 0x3fc, v87
	v_and_b32_e32 v89, 0x3fc, v89
	global_load_b32 v87, v87, s[14:15]
	global_load_b32 v89, v89, s[12:13]
	s_wait_loadcnt 0x0
	v_dual_lshrrev_b32 v89, 6, v92 :: v_dual_bitop2_b32 v87, v87, v89 bitop3:0x14
	s_delay_alu instid0(VALU_DEP_1)
	v_and_b32_e32 v89, 0x3fc, v89
	global_load_b32 v86, v86, s[16:17] scale_offset
	global_load_b32 v89, v89, s[2:3]
	global_load_b32 v84, v84, s[16:17] scale_offset
	s_wait_loadcnt 0x1
	s_wait_xcnt 0x2
	v_xor3_b32 v86, v87, v89, v86
	s_wait_loadcnt 0x0
	v_xor3_b32 v84, v88, v84, v8
	s_delay_alu instid0(VALU_DEP_2) | instskip(NEXT) | instid1(VALU_DEP_2)
	v_xor_b32_e32 v91, v86, v38
	v_xor_b32_e32 v89, v84, v35
	;; [unrolled: 1-line block ×3, first 2 shown]
	v_bitop3_b32 v86, v86, 0xff, v38 bitop3:0x48
	v_bitop3_b32 v83, v83, 0xff, v35 bitop3:0x48
	s_delay_alu instid0(VALU_DEP_4) | instskip(NEXT) | instid1(VALU_DEP_4)
	v_dual_lshrrev_b32 v92, 6, v91 :: v_dual_lshrrev_b32 v90, 14, v89
	v_lshrrev_b32_e32 v88, 22, v87
	v_bitop3_b32 v84, v84, 0xff, v35 bitop3:0x48
	s_delay_alu instid0(VALU_DEP_3) | instskip(NEXT) | instid1(VALU_DEP_4)
	v_and_b32_e32 v92, 0x3fc, v92
	v_and_b32_e32 v90, 0x3fc, v90
	s_delay_alu instid0(VALU_DEP_4)
	v_and_b32_e32 v88, 0x3fc, v88
	global_load_b32 v88, v88, s[14:15]
	global_load_b32 v90, v90, s[12:13]
	;; [unrolled: 1-line block ×3, first 2 shown]
	s_wait_loadcnt 0x0
	v_xor3_b32 v88, v88, v90, v92
	v_xor_b32_e32 v90, v85, v36
	v_bitop3_b32 v85, v85, 0xff, v36 bitop3:0x48
	s_delay_alu instid0(VALU_DEP_2) | instskip(SKIP_1) | instid1(VALU_DEP_2)
	v_dual_lshrrev_b32 v92, 22, v90 :: v_dual_lshrrev_b32 v93, 14, v87
	v_lshrrev_b32_e32 v87, 6, v87
	v_and_b32_e32 v92, 0x3fc, v92
	s_delay_alu instid0(VALU_DEP_3)
	v_and_b32_e32 v93, 0x3fc, v93
	global_load_b32 v92, v92, s[14:15]
	global_load_b32 v93, v93, s[12:13]
	v_and_b32_e32 v87, 0x3fc, v87
	s_wait_loadcnt 0x0
	v_xor_b32_e32 v92, v92, v93
	v_dual_lshrrev_b32 v93, 6, v89 :: v_dual_lshrrev_b32 v89, 22, v89
	s_delay_alu instid0(VALU_DEP_1)
	v_and_b32_e32 v93, 0x3fc, v93
	global_load_b32 v86, v86, s[16:17] scale_offset
	global_load_b32 v93, v93, s[2:3]
	v_and_b32_e32 v89, 0x3fc, v89
	s_wait_loadcnt 0x0
	v_xor3_b32 v86, v92, v93, v86
	v_lshrrev_b32_e32 v92, 14, v91
	s_delay_alu instid0(VALU_DEP_1)
	v_and_b32_e32 v92, 0x3fc, v92
	global_load_b32 v89, v89, s[14:15]
	global_load_b32 v92, v92, s[12:13]
	s_wait_loadcnt 0x0
	v_dual_lshrrev_b32 v92, 6, v90 :: v_dual_bitop2_b32 v89, v89, v92 bitop3:0x14
	v_lshrrev_b32_e32 v90, 14, v90
	s_delay_alu instid0(VALU_DEP_2)
	v_and_b32_e32 v92, 0x3fc, v92
	global_load_b32 v83, v83, s[16:17] scale_offset
	global_load_b32 v92, v92, s[2:3]
	v_and_b32_e32 v90, 0x3fc, v90
	s_wait_loadcnt 0x0
	v_xor3_b32 v83, v89, v92, v83
	v_lshrrev_b32_e32 v89, 22, v91
	s_delay_alu instid0(VALU_DEP_1)
	v_and_b32_e32 v89, 0x3fc, v89
	global_load_b32 v89, v89, s[14:15]
	global_load_b32 v90, v90, s[12:13]
	global_load_b32 v84, v84, s[16:17] scale_offset
	global_load_b32 v87, v87, s[2:3]
	global_load_b32 v85, v85, s[16:17] scale_offset
	s_wait_loadcnt 0x3
	s_wait_xcnt 0x4
	v_xor_b32_e32 v89, v89, v90
	s_wait_loadcnt 0x0
	v_xor3_b32 v85, v88, v85, v25
	s_delay_alu instid0(VALU_DEP_2) | instskip(NEXT) | instid1(VALU_DEP_1)
	v_xor3_b32 v84, v89, v87, v84
	v_bitop3_b32 v92, v84, 0xff, v54 bitop3:0x48
	v_xor_b32_e32 v84, v84, v54
	s_delay_alu instid0(VALU_DEP_4) | instskip(SKIP_3) | instid1(VALU_DEP_3)
	v_xor_b32_e32 v89, v85, v50
	v_xor_b32_e32 v87, v86, v50
	v_bitop3_b32 v86, v86, 0xff, v50 bitop3:0x48
	v_bitop3_b32 v85, v85, 0xff, v50 bitop3:0x48
	v_dual_lshrrev_b32 v90, 14, v89 :: v_dual_lshrrev_b32 v88, 22, v87
	s_delay_alu instid0(VALU_DEP_1) | instskip(NEXT) | instid1(VALU_DEP_2)
	v_and_b32_e32 v90, 0x3fc, v90
	v_and_b32_e32 v88, 0x3fc, v88
	global_load_b32 v88, v88, s[14:15]
	global_load_b32 v90, v90, s[12:13]
	s_wait_loadcnt 0x0
	v_xor_b32_e32 v88, v88, v90
	v_xor_b32_e32 v90, v83, v27
	v_bitop3_b32 v83, v83, 0xff, v27 bitop3:0x48
	s_delay_alu instid0(VALU_DEP_2) | instskip(NEXT) | instid1(VALU_DEP_1)
	v_lshrrev_b32_e32 v91, 6, v90
	v_and_b32_e32 v91, 0x3fc, v91
	global_load_b32 v92, v92, s[16:17] scale_offset
	global_load_b32 v91, v91, s[2:3]
	s_wait_loadcnt 0x0
	v_xor3_b32 v88, v88, v91, v92
	v_dual_lshrrev_b32 v91, 22, v89 :: v_dual_lshrrev_b32 v92, 14, v90
	v_lshrrev_b32_e32 v90, 22, v90
	s_delay_alu instid0(VALU_DEP_2) | instskip(NEXT) | instid1(VALU_DEP_3)
	v_and_b32_e32 v91, 0x3fc, v91
	v_and_b32_e32 v92, 0x3fc, v92
	global_load_b32 v91, v91, s[14:15]
	global_load_b32 v92, v92, s[12:13]
	v_and_b32_e32 v90, 0x3fc, v90
	s_wait_loadcnt 0x0
	v_xor_b32_e32 v91, v91, v92
	v_lshrrev_b32_e32 v92, 6, v84
	s_delay_alu instid0(VALU_DEP_1)
	v_and_b32_e32 v92, 0x3fc, v92
	global_load_b32 v86, v86, s[16:17] scale_offset
	global_load_b32 v92, v92, s[2:3]
	s_wait_loadcnt 0x0
	v_xor3_b32 v86, v91, v92, v86
	v_lshrrev_b32_e32 v91, 14, v84
	s_delay_alu instid0(VALU_DEP_1)
	v_and_b32_e32 v91, 0x3fc, v91
	global_load_b32 v90, v90, s[14:15]
	global_load_b32 v91, v91, s[12:13]
	s_wait_loadcnt 0x0
	v_xor_b32_e32 v90, v90, v91
	v_dual_lshrrev_b32 v91, 6, v87 :: v_dual_lshrrev_b32 v84, 22, v84
	v_lshrrev_b32_e32 v87, 14, v87
	s_delay_alu instid0(VALU_DEP_2) | instskip(NEXT) | instid1(VALU_DEP_3)
	v_and_b32_e32 v91, 0x3fc, v91
	v_and_b32_e32 v84, 0x3fc, v84
	s_delay_alu instid0(VALU_DEP_3)
	v_and_b32_e32 v87, 0x3fc, v87
	global_load_b32 v85, v85, s[16:17] scale_offset
	global_load_b32 v91, v91, s[2:3]
	global_load_b32 v84, v84, s[14:15]
	;; [unrolled: 1-line block ×3, first 2 shown]
	s_wait_loadcnt 0x0
	v_dual_lshrrev_b32 v87, 6, v89 :: v_dual_bitop2_b32 v84, v84, v87 bitop3:0x14
	v_xor3_b32 v85, v90, v91, v85
	s_delay_alu instid0(VALU_DEP_2)
	v_and_b32_e32 v87, 0x3fc, v87
	global_load_b32 v83, v83, s[16:17] scale_offset
	global_load_b32 v87, v87, s[2:3]
	s_wait_loadcnt 0x0
	v_xor3_b32 v83, v84, v87, v83
	v_xor_b32_e32 v84, v85, v23
	v_bitop3_b32 v85, v85, 0xff, v23 bitop3:0x48
	s_delay_alu instid0(VALU_DEP_2) | instskip(SKIP_3) | instid1(VALU_DEP_4)
	v_dual_lshrrev_b32 v87, 22, v84 :: v_dual_bitop2_b32 v89, v83, v42 bitop3:0x14
	v_xor_b32_e32 v91, v88, v40
	v_bitop3_b32 v83, v83, 0xff, v42 bitop3:0x48
	v_bitop3_b32 v88, v88, 0xff, v40 bitop3:0x48
	v_lshrrev_b32_e32 v90, 14, v89
	v_and_b32_e32 v87, 0x3fc, v87
	v_lshrrev_b32_e32 v92, 6, v91
	s_delay_alu instid0(VALU_DEP_3) | instskip(NEXT) | instid1(VALU_DEP_2)
	v_and_b32_e32 v90, 0x3fc, v90
	v_and_b32_e32 v92, 0x3fc, v92
	global_load_b32 v87, v87, s[14:15]
	global_load_b32 v90, v90, s[12:13]
	;; [unrolled: 1-line block ×3, first 2 shown]
	s_wait_loadcnt 0x0
	v_xor3_b32 v87, v87, v90, v92
	v_xor_b32_e32 v92, v86, v55
	v_lshrrev_b32_e32 v90, 22, v91
	v_bitop3_b32 v86, v86, 0xff, v55 bitop3:0x48
	s_delay_alu instid0(VALU_DEP_3) | instskip(NEXT) | instid1(VALU_DEP_3)
	v_lshrrev_b32_e32 v93, 14, v92
	v_and_b32_e32 v90, 0x3fc, v90
	s_delay_alu instid0(VALU_DEP_2)
	v_and_b32_e32 v93, 0x3fc, v93
	global_load_b32 v90, v90, s[14:15]
	global_load_b32 v93, v93, s[12:13]
	s_wait_loadcnt 0x0
	v_dual_lshrrev_b32 v93, 6, v84 :: v_dual_bitop2_b32 v90, v90, v93 bitop3:0x14
	v_lshrrev_b32_e32 v84, 14, v84
	s_delay_alu instid0(VALU_DEP_2)
	v_and_b32_e32 v93, 0x3fc, v93
	global_load_b32 v83, v83, s[16:17] scale_offset
	global_load_b32 v93, v93, s[2:3]
	v_and_b32_e32 v84, 0x3fc, v84
	s_wait_loadcnt 0x0
	v_xor3_b32 v83, v90, v93, v83
	v_lshrrev_b32_e32 v90, 22, v92
	s_delay_alu instid0(VALU_DEP_1) | instskip(SKIP_4) | instid1(VALU_DEP_1)
	v_and_b32_e32 v90, 0x3fc, v90
	global_load_b32 v90, v90, s[14:15]
	global_load_b32 v84, v84, s[12:13]
	s_wait_loadcnt 0x0
	v_dual_lshrrev_b32 v90, 6, v89 :: v_dual_bitop2_b32 v84, v90, v84 bitop3:0x14
	v_and_b32_e32 v90, 0x3fc, v90
	global_load_b32 v88, v88, s[16:17] scale_offset
	global_load_b32 v90, v90, s[2:3]
	s_wait_loadcnt 0x0
	v_xor3_b32 v84, v84, v90, v88
	v_dual_lshrrev_b32 v88, 22, v89 :: v_dual_lshrrev_b32 v89, 14, v91
	v_xor_b32_e32 v91, v83, v56
	v_bitop3_b32 v83, v83, 0xff, v56 bitop3:0x48
	s_delay_alu instid0(VALU_DEP_3) | instskip(NEXT) | instid1(VALU_DEP_4)
	v_and_b32_e32 v88, 0x3fc, v88
	v_and_b32_e32 v89, 0x3fc, v89
	global_load_b32 v88, v88, s[14:15]
	global_load_b32 v89, v89, s[12:13]
	s_wait_loadcnt 0x0
	v_dual_lshrrev_b32 v89, 6, v92 :: v_dual_bitop2_b32 v88, v88, v89 bitop3:0x14
	v_lshrrev_b32_e32 v92, 6, v91
	s_delay_alu instid0(VALU_DEP_2)
	v_and_b32_e32 v89, 0x3fc, v89
	global_load_b32 v85, v85, s[16:17] scale_offset
	global_load_b32 v89, v89, s[2:3]
	global_load_b32 v86, v86, s[16:17] scale_offset
	v_and_b32_e32 v92, 0x3fc, v92
	s_wait_loadcnt 0x1
	s_wait_xcnt 0x2
	v_xor3_b32 v85, v88, v89, v85
	s_wait_loadcnt 0x0
	v_xor3_b32 v86, v87, v86, v27
	s_delay_alu instid0(VALU_DEP_2) | instskip(NEXT) | instid1(VALU_DEP_2)
	v_xor_b32_e32 v89, v85, v52
	v_xor_b32_e32 v87, v86, v28
	v_bitop3_b32 v85, v85, 0xff, v52 bitop3:0x48
	v_bitop3_b32 v86, v86, 0xff, v28 bitop3:0x48
	s_delay_alu instid0(VALU_DEP_3) | instskip(NEXT) | instid1(VALU_DEP_1)
	v_dual_lshrrev_b32 v90, 14, v89 :: v_dual_lshrrev_b32 v88, 22, v87
	v_and_b32_e32 v90, 0x3fc, v90
	s_delay_alu instid0(VALU_DEP_2)
	v_and_b32_e32 v88, 0x3fc, v88
	global_load_b32 v88, v88, s[14:15]
	global_load_b32 v90, v90, s[12:13]
	;; [unrolled: 1-line block ×3, first 2 shown]
	s_wait_loadcnt 0x0
	v_xor3_b32 v88, v88, v90, v92
	v_dual_lshrrev_b32 v90, 22, v91 :: v_dual_bitop2_b32 v92, v84, v28 bitop3:0x14
	v_bitop3_b32 v84, v84, 0xff, v28 bitop3:0x48
	s_delay_alu instid0(VALU_DEP_2) | instskip(NEXT) | instid1(VALU_DEP_3)
	v_and_b32_e32 v90, 0x3fc, v90
	v_lshrrev_b32_e32 v93, 14, v92
	s_delay_alu instid0(VALU_DEP_1)
	v_and_b32_e32 v93, 0x3fc, v93
	global_load_b32 v90, v90, s[14:15]
	global_load_b32 v93, v93, s[12:13]
	s_wait_loadcnt 0x0
	v_dual_lshrrev_b32 v93, 6, v87 :: v_dual_bitop2_b32 v90, v90, v93 bitop3:0x14
	v_lshrrev_b32_e32 v87, 14, v87
	s_delay_alu instid0(VALU_DEP_2)
	v_and_b32_e32 v93, 0x3fc, v93
	global_load_b32 v85, v85, s[16:17] scale_offset
	global_load_b32 v93, v93, s[2:3]
	v_and_b32_e32 v87, 0x3fc, v87
	s_wait_loadcnt 0x0
	v_xor3_b32 v85, v90, v93, v85
	v_lshrrev_b32_e32 v90, 22, v92
	s_delay_alu instid0(VALU_DEP_1) | instskip(SKIP_4) | instid1(VALU_DEP_1)
	v_and_b32_e32 v90, 0x3fc, v90
	global_load_b32 v90, v90, s[14:15]
	global_load_b32 v87, v87, s[12:13]
	s_wait_loadcnt 0x0
	v_dual_lshrrev_b32 v90, 6, v89 :: v_dual_bitop2_b32 v87, v90, v87 bitop3:0x14
	v_and_b32_e32 v90, 0x3fc, v90
	global_load_b32 v83, v83, s[16:17] scale_offset
	global_load_b32 v90, v90, s[2:3]
	s_wait_loadcnt 0x0
	v_xor3_b32 v83, v87, v90, v83
	v_dual_lshrrev_b32 v87, 22, v89 :: v_dual_lshrrev_b32 v89, 14, v91
	s_delay_alu instid0(VALU_DEP_1) | instskip(NEXT) | instid1(VALU_DEP_2)
	v_and_b32_e32 v87, 0x3fc, v87
	v_and_b32_e32 v89, 0x3fc, v89
	global_load_b32 v87, v87, s[14:15]
	global_load_b32 v89, v89, s[12:13]
	s_wait_loadcnt 0x0
	v_dual_lshrrev_b32 v89, 6, v92 :: v_dual_bitop2_b32 v87, v87, v89 bitop3:0x14
	s_delay_alu instid0(VALU_DEP_1)
	v_and_b32_e32 v89, 0x3fc, v89
	global_load_b32 v86, v86, s[16:17] scale_offset
	global_load_b32 v89, v89, s[2:3]
	global_load_b32 v84, v84, s[16:17] scale_offset
	s_wait_loadcnt 0x1
	s_wait_xcnt 0x2
	v_xor3_b32 v86, v87, v89, v86
	s_wait_loadcnt 0x0
	v_xor3_b32 v84, v88, v84, v23
	v_xor_b32_e32 v87, v83, v37
	v_bitop3_b32 v83, v83, 0xff, v37 bitop3:0x48
	v_xor_b32_e32 v91, v86, v7
	s_delay_alu instid0(VALU_DEP_3) | instskip(SKIP_2) | instid1(VALU_DEP_3)
	v_dual_lshrrev_b32 v88, 22, v87 :: v_dual_bitop2_b32 v89, v84, v37 bitop3:0x14
	v_lshrrev_b32_e32 v93, 14, v87
	v_bitop3_b32 v86, v86, 0xff, v7 bitop3:0x48
	v_dual_lshrrev_b32 v92, 6, v91 :: v_dual_lshrrev_b32 v90, 14, v89
	s_delay_alu instid0(VALU_DEP_4) | instskip(NEXT) | instid1(VALU_DEP_4)
	v_and_b32_e32 v88, 0x3fc, v88
	v_and_b32_e32 v93, 0x3fc, v93
	v_lshrrev_b32_e32 v87, 6, v87
	s_delay_alu instid0(VALU_DEP_4)
	v_and_b32_e32 v92, 0x3fc, v92
	v_and_b32_e32 v90, 0x3fc, v90
	global_load_b32 v88, v88, s[14:15]
	global_load_b32 v90, v90, s[12:13]
	;; [unrolled: 1-line block ×3, first 2 shown]
	v_bitop3_b32 v84, v84, 0xff, v37 bitop3:0x48
	v_and_b32_e32 v87, 0x3fc, v87
	s_wait_loadcnt 0x0
	v_xor3_b32 v88, v88, v90, v92
	v_xor_b32_e32 v90, v85, v39
	v_bitop3_b32 v85, v85, 0xff, v39 bitop3:0x48
	s_delay_alu instid0(VALU_DEP_2) | instskip(NEXT) | instid1(VALU_DEP_1)
	v_lshrrev_b32_e32 v92, 22, v90
	v_and_b32_e32 v92, 0x3fc, v92
	global_load_b32 v92, v92, s[14:15]
	global_load_b32 v93, v93, s[12:13]
	s_wait_loadcnt 0x0
	v_xor_b32_e32 v92, v92, v93
	v_dual_lshrrev_b32 v93, 6, v89 :: v_dual_lshrrev_b32 v89, 22, v89
	s_delay_alu instid0(VALU_DEP_1)
	v_and_b32_e32 v93, 0x3fc, v93
	global_load_b32 v86, v86, s[16:17] scale_offset
	global_load_b32 v93, v93, s[2:3]
	v_and_b32_e32 v89, 0x3fc, v89
	s_wait_loadcnt 0x0
	v_xor3_b32 v86, v92, v93, v86
	v_lshrrev_b32_e32 v92, 14, v91
	s_delay_alu instid0(VALU_DEP_1)
	v_and_b32_e32 v92, 0x3fc, v92
	global_load_b32 v89, v89, s[14:15]
	global_load_b32 v92, v92, s[12:13]
	s_wait_loadcnt 0x0
	v_dual_lshrrev_b32 v92, 6, v90 :: v_dual_bitop2_b32 v89, v89, v92 bitop3:0x14
	v_lshrrev_b32_e32 v90, 14, v90
	s_delay_alu instid0(VALU_DEP_2)
	v_and_b32_e32 v92, 0x3fc, v92
	global_load_b32 v83, v83, s[16:17] scale_offset
	global_load_b32 v92, v92, s[2:3]
	v_and_b32_e32 v90, 0x3fc, v90
	s_wait_loadcnt 0x0
	v_xor3_b32 v83, v89, v92, v83
	v_lshrrev_b32_e32 v89, 22, v91
	s_delay_alu instid0(VALU_DEP_1)
	v_and_b32_e32 v89, 0x3fc, v89
	global_load_b32 v89, v89, s[14:15]
	global_load_b32 v90, v90, s[12:13]
	global_load_b32 v84, v84, s[16:17] scale_offset
	global_load_b32 v87, v87, s[2:3]
	global_load_b32 v85, v85, s[16:17] scale_offset
	s_wait_loadcnt 0x3
	s_wait_xcnt 0x4
	v_xor_b32_e32 v89, v89, v90
	s_wait_loadcnt 0x0
	v_xor3_b32 v85, v88, v85, v28
	s_delay_alu instid0(VALU_DEP_2) | instskip(SKIP_1) | instid1(VALU_DEP_3)
	v_xor3_b32 v84, v89, v87, v84
	v_xor_b32_e32 v87, v86, v29
	v_xor_b32_e32 v89, v85, v29
	v_bitop3_b32 v86, v86, 0xff, v29 bitop3:0x48
	v_bitop3_b32 v85, v85, 0xff, v29 bitop3:0x48
	;; [unrolled: 1-line block ×3, first 2 shown]
	s_delay_alu instid0(VALU_DEP_4) | instskip(SKIP_1) | instid1(VALU_DEP_2)
	v_dual_lshrrev_b32 v88, 22, v87 :: v_dual_lshrrev_b32 v90, 14, v89
	v_xor_b32_e32 v84, v84, v53
	v_and_b32_e32 v88, 0x3fc, v88
	s_delay_alu instid0(VALU_DEP_3)
	v_and_b32_e32 v90, 0x3fc, v90
	global_load_b32 v88, v88, s[14:15]
	global_load_b32 v90, v90, s[12:13]
	s_wait_loadcnt 0x0
	v_xor_b32_e32 v88, v88, v90
	v_xor_b32_e32 v90, v83, v30
	v_bitop3_b32 v83, v83, 0xff, v30 bitop3:0x48
	s_delay_alu instid0(VALU_DEP_2) | instskip(NEXT) | instid1(VALU_DEP_1)
	v_lshrrev_b32_e32 v91, 6, v90
	v_and_b32_e32 v91, 0x3fc, v91
	global_load_b32 v92, v92, s[16:17] scale_offset
	global_load_b32 v91, v91, s[2:3]
	s_wait_loadcnt 0x0
	v_xor3_b32 v88, v88, v91, v92
	v_dual_lshrrev_b32 v91, 22, v89 :: v_dual_lshrrev_b32 v92, 14, v90
	s_delay_alu instid0(VALU_DEP_1) | instskip(NEXT) | instid1(VALU_DEP_2)
	v_and_b32_e32 v91, 0x3fc, v91
	v_and_b32_e32 v92, 0x3fc, v92
	global_load_b32 v91, v91, s[14:15]
	global_load_b32 v92, v92, s[12:13]
	s_wait_loadcnt 0x0
	v_xor_b32_e32 v91, v91, v92
	v_dual_lshrrev_b32 v92, 6, v84 :: v_dual_lshrrev_b32 v90, 22, v90
	s_delay_alu instid0(VALU_DEP_1)
	v_and_b32_e32 v92, 0x3fc, v92
	global_load_b32 v86, v86, s[16:17] scale_offset
	global_load_b32 v92, v92, s[2:3]
	v_and_b32_e32 v90, 0x3fc, v90
	s_wait_loadcnt 0x0
	v_xor3_b32 v86, v91, v92, v86
	v_lshrrev_b32_e32 v91, 14, v84
	s_delay_alu instid0(VALU_DEP_1)
	v_and_b32_e32 v91, 0x3fc, v91
	global_load_b32 v90, v90, s[14:15]
	global_load_b32 v91, v91, s[12:13]
	s_wait_loadcnt 0x0
	v_xor_b32_e32 v90, v90, v91
	v_dual_lshrrev_b32 v91, 6, v87 :: v_dual_lshrrev_b32 v84, 22, v84
	v_lshrrev_b32_e32 v87, 14, v87
	s_delay_alu instid0(VALU_DEP_2) | instskip(NEXT) | instid1(VALU_DEP_3)
	v_and_b32_e32 v91, 0x3fc, v91
	v_and_b32_e32 v84, 0x3fc, v84
	s_delay_alu instid0(VALU_DEP_3)
	v_and_b32_e32 v87, 0x3fc, v87
	global_load_b32 v85, v85, s[16:17] scale_offset
	global_load_b32 v91, v91, s[2:3]
	global_load_b32 v84, v84, s[14:15]
	;; [unrolled: 1-line block ×3, first 2 shown]
	s_wait_loadcnt 0x0
	v_dual_lshrrev_b32 v87, 6, v89 :: v_dual_bitop2_b32 v84, v84, v87 bitop3:0x14
	v_xor_b32_e32 v89, v86, v57
	v_xor3_b32 v85, v90, v91, v85
	s_delay_alu instid0(VALU_DEP_3)
	v_and_b32_e32 v87, 0x3fc, v87
	global_load_b32 v83, v83, s[16:17] scale_offset
	global_load_b32 v87, v87, s[2:3]
	v_lshrrev_b32_e32 v90, 14, v89
	v_xor_b32_e32 v91, v85, v21
	v_bitop3_b32 v85, v85, 0xff, v21 bitop3:0x48
	s_delay_alu instid0(VALU_DEP_3) | instskip(NEXT) | instid1(VALU_DEP_3)
	v_and_b32_e32 v90, 0x3fc, v90
	v_lshrrev_b32_e32 v92, 6, v91
	s_delay_alu instid0(VALU_DEP_1) | instskip(SKIP_4) | instid1(VALU_DEP_2)
	v_and_b32_e32 v92, 0x3fc, v92
	s_wait_loadcnt 0x0
	v_xor3_b32 v83, v84, v87, v83
	v_xor_b32_e32 v84, v88, v41
	v_bitop3_b32 v88, v88, 0xff, v41 bitop3:0x48
	v_dual_lshrrev_b32 v87, 22, v84 :: v_dual_lshrrev_b32 v94, 6, v84
	v_lshrrev_b32_e32 v84, 14, v84
	s_delay_alu instid0(VALU_DEP_2)
	v_and_b32_e32 v87, 0x3fc, v87
	global_load_b32 v87, v87, s[14:15]
	global_load_b32 v90, v90, s[12:13]
	;; [unrolled: 1-line block ×3, first 2 shown]
	v_and_b32_e32 v94, 0x3fc, v94
	v_and_b32_e32 v84, 0x3fc, v84
	s_wait_loadcnt 0x0
	v_xor3_b32 v87, v87, v90, v92
	v_xor_b32_e32 v92, v83, v43
	v_dual_lshrrev_b32 v90, 22, v91 :: v_dual_lshrrev_b32 v91, 14, v91
	v_bitop3_b32 v83, v83, 0xff, v43 bitop3:0x48
	s_delay_alu instid0(VALU_DEP_3) | instskip(NEXT) | instid1(VALU_DEP_3)
	v_lshrrev_b32_e32 v93, 14, v92
	v_and_b32_e32 v90, 0x3fc, v90
	s_delay_alu instid0(VALU_DEP_2)
	v_and_b32_e32 v93, 0x3fc, v93
	global_load_b32 v90, v90, s[14:15]
	global_load_b32 v93, v93, s[12:13]
	;; [unrolled: 1-line block ×3, first 2 shown]
	s_wait_loadcnt 0x0
	v_xor3_b32 v90, v90, v93, v94
	v_lshrrev_b32_e32 v93, 22, v89
	v_and_b32_e32 v91, 0x3fc, v91
	v_lshrrev_b32_e32 v89, 6, v89
	s_delay_alu instid0(VALU_DEP_3)
	v_and_b32_e32 v93, 0x3fc, v93
	global_load_b32 v93, v93, s[14:15]
	global_load_b32 v91, v91, s[12:13]
	v_and_b32_e32 v89, 0x3fc, v89
	s_wait_loadcnt 0x0
	v_dual_lshrrev_b32 v93, 6, v92 :: v_dual_bitop2_b32 v91, v93, v91 bitop3:0x14
	s_delay_alu instid0(VALU_DEP_1)
	v_and_b32_e32 v93, 0x3fc, v93
	global_load_b32 v88, v88, s[16:17] scale_offset
	global_load_b32 v93, v93, s[2:3]
	s_wait_loadcnt 0x0
	v_xor3_b32 v88, v91, v93, v88
	v_lshrrev_b32_e32 v91, 22, v92
	s_delay_alu instid0(VALU_DEP_1)
	v_and_b32_e32 v91, 0x3fc, v91
	global_load_b32 v91, v91, s[14:15]
	global_load_b32 v84, v84, s[12:13]
	global_load_b32 v85, v85, s[16:17] scale_offset
	global_load_b32 v89, v89, s[2:3]
	global_load_b32 v83, v83, s[16:17] scale_offset
	s_wait_loadcnt 0x3
	s_wait_xcnt 0x3
	v_xor_b32_e32 v84, v91, v84
	s_wait_loadcnt 0x1
	s_delay_alu instid0(VALU_DEP_1) | instskip(SKIP_1) | instid1(VALU_DEP_2)
	v_xor3_b32 v84, v84, v89, v85
	v_bitop3_b32 v85, v86, 0xff, v57 bitop3:0x48
	v_bitop3_b32 v92, v84, 0xff, v45 bitop3:0x48
	global_load_b32 v85, v85, s[16:17] scale_offset
	s_wait_loadcnt 0x1
	s_wait_xcnt 0x1
	v_xor3_b32 v83, v87, v83, v29
	s_delay_alu instid0(VALU_DEP_1)
	v_xor_b32_e32 v86, v83, v44
	v_xor_b32_e32 v84, v84, v45
	;; [unrolled: 1-line block ×3, first 2 shown]
	v_bitop3_b32 v83, v83, 0xff, v44 bitop3:0x48
	v_bitop3_b32 v88, v88, 0xff, v58 bitop3:0x48
	v_lshrrev_b32_e32 v87, 22, v86
	s_delay_alu instid0(VALU_DEP_1) | instskip(SKIP_3) | instid1(VALU_DEP_1)
	v_and_b32_e32 v87, 0x3fc, v87
	s_wait_loadcnt 0x0
	v_xor3_b32 v85, v90, v85, v30
	v_lshrrev_b32_e32 v90, 14, v89
	v_and_b32_e32 v90, 0x3fc, v90
	global_load_b32 v87, v87, s[2:3]
	global_load_b32 v90, v90, s[16:17]
	s_wait_loadcnt 0x0
	v_perm_b32 v87, v87, v90, 0x7020c0c
	v_xor_b32_e32 v90, v85, v58
	v_bitop3_b32 v85, v85, 0xff, v58 bitop3:0x48
	s_delay_alu instid0(VALU_DEP_2) | instskip(NEXT) | instid1(VALU_DEP_1)
	v_lshrrev_b32_e32 v91, 6, v90
	v_and_b32_e32 v91, 0x3fc, v91
	global_load_b32 v92, v92, s[12:13] scale_offset
	global_load_b32 v91, v91, s[14:15]
	s_wait_loadcnt 0x1
	s_wait_xcnt 0x1
	v_and_b32_e32 v92, 0xff, v92
	s_wait_loadcnt 0x0
	v_and_b32_e32 v91, 0xff00, v91
	s_delay_alu instid0(VALU_DEP_1) | instskip(SKIP_2) | instid1(VALU_DEP_3)
	v_or3_b32 v87, v87, v91, v92
	v_dual_lshrrev_b32 v91, 22, v89 :: v_dual_lshrrev_b32 v92, 14, v90
	v_lshrrev_b32_e32 v90, 22, v90
	v_xor3_b32 v69, v69, v87, v17
	s_delay_alu instid0(VALU_DEP_3) | instskip(NEXT) | instid1(VALU_DEP_4)
	v_and_b32_e32 v91, 0x3fc, v91
	v_and_b32_e32 v92, 0x3fc, v92
	global_load_b32 v91, v91, s[2:3]
	global_load_b32 v92, v92, s[16:17]
	v_and_b32_e32 v90, 0x3fc, v90
	v_xor_b32_e32 v79, v69, v74
	v_bitop3_b32 v69, v69, 0xff, v74 bitop3:0x48
	s_wait_loadcnt 0x0
	v_perm_b32 v91, v91, v92, 0x7020c0c
	v_lshrrev_b32_e32 v92, 6, v84
	s_delay_alu instid0(VALU_DEP_1)
	v_and_b32_e32 v92, 0x3fc, v92
	global_load_b32 v83, v83, s[12:13] scale_offset
	global_load_b32 v92, v92, s[14:15]
	s_wait_loadcnt 0x1
	s_wait_xcnt 0x1
	v_and_b32_e32 v83, 0xff, v83
	s_wait_loadcnt 0x0
	v_and_b32_e32 v92, 0xff00, v92
	s_delay_alu instid0(VALU_DEP_1) | instskip(SKIP_1) | instid1(VALU_DEP_2)
	v_or3_b32 v83, v91, v92, v83
	v_lshrrev_b32_e32 v91, 14, v84
	v_xor3_b32 v70, v70, v83, v16
	s_delay_alu instid0(VALU_DEP_2)
	v_and_b32_e32 v91, 0x3fc, v91
	global_load_b32 v90, v90, s[2:3]
	global_load_b32 v91, v91, s[16:17]
	v_lshrrev_b32_e32 v80, 22, v79
	s_wait_loadcnt 0x0
	v_perm_b32 v90, v90, v91, 0x7020c0c
	v_dual_lshrrev_b32 v91, 6, v86 :: v_dual_lshrrev_b32 v84, 22, v84
	v_lshrrev_b32_e32 v86, 14, v86
	s_delay_alu instid0(VALU_DEP_2) | instskip(NEXT) | instid1(VALU_DEP_3)
	v_and_b32_e32 v91, 0x3fc, v91
	v_and_b32_e32 v84, 0x3fc, v84
	s_delay_alu instid0(VALU_DEP_3)
	v_and_b32_e32 v86, 0x3fc, v86
	global_load_b32 v88, v88, s[12:13] scale_offset
	global_load_b32 v91, v91, s[14:15]
	global_load_b32 v84, v84, s[2:3]
	;; [unrolled: 1-line block ×3, first 2 shown]
	s_wait_loadcnt 0x3
	s_wait_xcnt 0x3
	v_and_b32_e32 v88, 0xff, v88
	s_wait_loadcnt 0x2
	s_wait_xcnt 0x2
	v_and_b32_e32 v91, 0xff00, v91
	s_wait_loadcnt 0x0
	v_perm_b32 v84, v84, v86, 0x7020c0c
	v_lshrrev_b32_e32 v86, 6, v89
	s_delay_alu instid0(VALU_DEP_3) | instskip(NEXT) | instid1(VALU_DEP_2)
	v_or3_b32 v88, v90, v91, v88
	v_and_b32_e32 v86, 0x3fc, v86
	global_load_b32 v85, v85, s[12:13] scale_offset
	global_load_b32 v86, v86, s[14:15]
	v_xor3_b32 v72, v81, v72, v88
	v_xor3_b32 v81, v7, v82, v73
	s_delay_alu instid0(VALU_DEP_2)
	v_xor3_b32 v72, v72, v21, v73
	s_wait_loadcnt 0x1
	s_wait_xcnt 0x1
	v_and_b32_e32 v85, 0xff, v85
	s_wait_loadcnt 0x0
	v_and_b32_e32 v86, 0xff00, v86
	s_delay_alu instid0(VALU_DEP_1) | instskip(NEXT) | instid1(VALU_DEP_1)
	v_or3_b32 v84, v84, v86, v85
	v_xor3_b32 v71, v81, v71, v84
	v_xor_b32_e32 v81, v70, v73
	v_and_b32_e32 v80, 0x3fc, v80
	v_bitop3_b32 v70, v70, 0xff, v73 bitop3:0x48
	s_delay_alu instid0(VALU_DEP_4) | instskip(NEXT) | instid1(VALU_DEP_4)
	v_xor3_b32 v71, v71, v7, v73
	v_lshrrev_b32_e32 v82, 14, v81
	s_delay_alu instid0(VALU_DEP_2) | instskip(NEXT) | instid1(VALU_DEP_2)
	v_bitop3_b32 v84, v71, 0xff, v18 bitop3:0x48
	v_and_b32_e32 v82, 0x3fc, v82
	v_xor_b32_e32 v71, v71, v18
	global_load_b32 v80, v80, s[14:15]
	global_load_b32 v82, v82, s[12:13]
	s_wait_loadcnt 0x0
	v_xor_b32_e32 v80, v80, v82
	v_xor_b32_e32 v82, v72, v19
	v_bitop3_b32 v72, v72, 0xff, v19 bitop3:0x48
	s_delay_alu instid0(VALU_DEP_2) | instskip(NEXT) | instid1(VALU_DEP_1)
	v_lshrrev_b32_e32 v83, 6, v82
	v_and_b32_e32 v83, 0x3fc, v83
	global_load_b32 v84, v84, s[16:17] scale_offset
	global_load_b32 v83, v83, s[2:3]
	s_wait_loadcnt 0x0
	v_xor3_b32 v80, v80, v83, v84
	v_dual_lshrrev_b32 v83, 22, v81 :: v_dual_lshrrev_b32 v84, 14, v82
	v_lshrrev_b32_e32 v82, 22, v82
	s_delay_alu instid0(VALU_DEP_2) | instskip(NEXT) | instid1(VALU_DEP_3)
	v_and_b32_e32 v83, 0x3fc, v83
	v_and_b32_e32 v84, 0x3fc, v84
	s_delay_alu instid0(VALU_DEP_3) | instskip(SKIP_4) | instid1(VALU_DEP_1)
	v_and_b32_e32 v82, 0x3fc, v82
	global_load_b32 v83, v83, s[14:15]
	global_load_b32 v84, v84, s[12:13]
	s_wait_loadcnt 0x0
	v_dual_lshrrev_b32 v84, 6, v71 :: v_dual_bitop2_b32 v83, v83, v84 bitop3:0x14
	v_and_b32_e32 v84, 0x3fc, v84
	global_load_b32 v69, v69, s[16:17] scale_offset
	global_load_b32 v84, v84, s[2:3]
	s_wait_loadcnt 0x0
	v_xor3_b32 v69, v83, v84, v69
	v_lshrrev_b32_e32 v83, 14, v71
	s_delay_alu instid0(VALU_DEP_1)
	v_and_b32_e32 v83, 0x3fc, v83
	global_load_b32 v82, v82, s[14:15]
	global_load_b32 v83, v83, s[12:13]
	s_wait_loadcnt 0x0
	v_xor_b32_e32 v82, v82, v83
	v_dual_lshrrev_b32 v83, 6, v79 :: v_dual_lshrrev_b32 v79, 14, v79
	v_lshrrev_b32_e32 v71, 22, v71
	s_delay_alu instid0(VALU_DEP_2) | instskip(NEXT) | instid1(VALU_DEP_3)
	v_and_b32_e32 v83, 0x3fc, v83
	v_and_b32_e32 v79, 0x3fc, v79
	s_delay_alu instid0(VALU_DEP_3)
	v_and_b32_e32 v71, 0x3fc, v71
	global_load_b32 v70, v70, s[16:17] scale_offset
	global_load_b32 v83, v83, s[2:3]
	global_load_b32 v79, v79, s[12:13]
	global_load_b32 v71, v71, s[14:15]
	s_wait_loadcnt 0x0
	v_dual_lshrrev_b32 v79, 6, v81 :: v_dual_bitop2_b32 v71, v71, v79 bitop3:0x14
	v_xor_b32_e32 v81, v69, v13
	v_bitop3_b32 v69, v69, 0xff, v13 bitop3:0x48
	s_delay_alu instid0(VALU_DEP_3)
	v_and_b32_e32 v79, 0x3fc, v79
	global_load_b32 v72, v72, s[16:17] scale_offset
	global_load_b32 v79, v79, s[2:3]
	s_wait_loadcnt 0x0
	v_xor3_b32 v71, v71, v79, v72
	v_xor_b32_e32 v72, v80, v15
	v_bitop3_b32 v80, v80, 0xff, v15 bitop3:0x48
	s_delay_alu instid0(VALU_DEP_3) | instskip(NEXT) | instid1(VALU_DEP_3)
	v_bitop3_b32 v84, v71, 0xff, v12 bitop3:0x48
	v_lshrrev_b32_e32 v79, 22, v72
	v_xor3_b32 v70, v82, v83, v70
	v_dual_lshrrev_b32 v82, 14, v81 :: v_dual_bitop2_b32 v71, v71, v12 bitop3:0x14
	s_delay_alu instid0(VALU_DEP_3) | instskip(NEXT) | instid1(VALU_DEP_2)
	v_and_b32_e32 v79, 0x3fc, v79
	v_and_b32_e32 v82, 0x3fc, v82
	global_load_b32 v79, v79, s[14:15]
	global_load_b32 v82, v82, s[12:13]
	s_wait_loadcnt 0x0
	v_xor_b32_e32 v79, v79, v82
	v_xor_b32_e32 v82, v70, v14
	v_bitop3_b32 v70, v70, 0xff, v14 bitop3:0x48
	s_delay_alu instid0(VALU_DEP_2) | instskip(NEXT) | instid1(VALU_DEP_1)
	v_lshrrev_b32_e32 v83, 6, v82
	v_and_b32_e32 v83, 0x3fc, v83
	global_load_b32 v84, v84, s[16:17] scale_offset
	global_load_b32 v83, v83, s[2:3]
	s_wait_loadcnt 0x0
	v_xor3_b32 v79, v79, v83, v84
	v_dual_lshrrev_b32 v83, 22, v81 :: v_dual_lshrrev_b32 v84, 14, v82
	s_delay_alu instid0(VALU_DEP_1) | instskip(NEXT) | instid1(VALU_DEP_2)
	v_and_b32_e32 v83, 0x3fc, v83
	v_and_b32_e32 v84, 0x3fc, v84
	global_load_b32 v83, v83, s[14:15]
	global_load_b32 v84, v84, s[12:13]
	s_wait_loadcnt 0x0
	v_dual_lshrrev_b32 v84, 6, v71 :: v_dual_bitop2_b32 v83, v83, v84 bitop3:0x14
	v_lshrrev_b32_e32 v82, 22, v82
	s_delay_alu instid0(VALU_DEP_2) | instskip(NEXT) | instid1(VALU_DEP_2)
	v_and_b32_e32 v84, 0x3fc, v84
	v_and_b32_e32 v82, 0x3fc, v82
	global_load_b32 v80, v80, s[16:17] scale_offset
	global_load_b32 v84, v84, s[2:3]
	s_wait_loadcnt 0x0
	v_xor3_b32 v80, v83, v84, v80
	v_dual_lshrrev_b32 v83, 14, v71 :: v_dual_lshrrev_b32 v71, 22, v71
	s_delay_alu instid0(VALU_DEP_1) | instskip(NEXT) | instid1(VALU_DEP_2)
	v_and_b32_e32 v83, 0x3fc, v83
	v_and_b32_e32 v71, 0x3fc, v71
	global_load_b32 v82, v82, s[14:15]
	global_load_b32 v83, v83, s[12:13]
	s_wait_loadcnt 0x0
	v_dual_lshrrev_b32 v83, 6, v72 :: v_dual_bitop2_b32 v82, v82, v83 bitop3:0x14
	v_lshrrev_b32_e32 v72, 14, v72
	s_delay_alu instid0(VALU_DEP_2) | instskip(NEXT) | instid1(VALU_DEP_2)
	v_and_b32_e32 v83, 0x3fc, v83
	v_and_b32_e32 v72, 0x3fc, v72
	global_load_b32 v69, v69, s[16:17] scale_offset
	global_load_b32 v83, v83, s[2:3]
	global_load_b32 v72, v72, s[12:13]
	;; [unrolled: 1-line block ×3, first 2 shown]
	s_wait_loadcnt 0x2
	s_wait_xcnt 0x3
	v_xor3_b32 v69, v82, v83, v69
	s_wait_loadcnt 0x0
	v_dual_lshrrev_b32 v72, 6, v81 :: v_dual_bitop2_b32 v71, v71, v72 bitop3:0x14
	v_xor_b32_e32 v81, v80, v10
	v_bitop3_b32 v80, v80, 0xff, v10 bitop3:0x48
	s_delay_alu instid0(VALU_DEP_3) | instskip(NEXT) | instid1(VALU_DEP_3)
	v_and_b32_e32 v72, 0x3fc, v72
	v_lshrrev_b32_e32 v82, 14, v81
	global_load_b32 v70, v70, s[16:17] scale_offset
	global_load_b32 v72, v72, s[2:3]
	v_and_b32_e32 v82, 0x3fc, v82
	s_wait_loadcnt 0x0
	v_xor3_b32 v70, v71, v72, v70
	v_xor_b32_e32 v71, v79, v22
	v_bitop3_b32 v79, v79, 0xff, v22 bitop3:0x48
	s_delay_alu instid0(VALU_DEP_3) | instskip(NEXT) | instid1(VALU_DEP_3)
	v_bitop3_b32 v84, v70, 0xff, v24 bitop3:0x48
	v_dual_lshrrev_b32 v72, 22, v71 :: v_dual_bitop2_b32 v70, v70, v24 bitop3:0x14
	s_delay_alu instid0(VALU_DEP_1)
	v_and_b32_e32 v72, 0x3fc, v72
	global_load_b32 v72, v72, s[14:15]
	global_load_b32 v82, v82, s[12:13]
	s_wait_loadcnt 0x0
	v_xor_b32_e32 v72, v72, v82
	v_xor_b32_e32 v82, v69, v20
	v_bitop3_b32 v69, v69, 0xff, v20 bitop3:0x48
	s_delay_alu instid0(VALU_DEP_2) | instskip(NEXT) | instid1(VALU_DEP_1)
	v_lshrrev_b32_e32 v83, 6, v82
	v_and_b32_e32 v83, 0x3fc, v83
	global_load_b32 v84, v84, s[16:17] scale_offset
	global_load_b32 v83, v83, s[2:3]
	s_wait_loadcnt 0x0
	v_xor3_b32 v72, v72, v83, v84
	v_dual_lshrrev_b32 v83, 22, v81 :: v_dual_lshrrev_b32 v84, 14, v82
	v_lshrrev_b32_e32 v82, 22, v82
	s_delay_alu instid0(VALU_DEP_2) | instskip(NEXT) | instid1(VALU_DEP_3)
	v_and_b32_e32 v83, 0x3fc, v83
	v_and_b32_e32 v84, 0x3fc, v84
	s_delay_alu instid0(VALU_DEP_3) | instskip(SKIP_4) | instid1(VALU_DEP_1)
	v_and_b32_e32 v82, 0x3fc, v82
	global_load_b32 v83, v83, s[14:15]
	global_load_b32 v84, v84, s[12:13]
	s_wait_loadcnt 0x0
	v_dual_lshrrev_b32 v84, 6, v70 :: v_dual_bitop2_b32 v83, v83, v84 bitop3:0x14
	v_and_b32_e32 v84, 0x3fc, v84
	global_load_b32 v79, v79, s[16:17] scale_offset
	global_load_b32 v84, v84, s[2:3]
	s_wait_loadcnt 0x0
	v_xor3_b32 v79, v83, v84, v79
	v_dual_lshrrev_b32 v83, 14, v70 :: v_dual_lshrrev_b32 v70, 22, v70
	s_delay_alu instid0(VALU_DEP_1) | instskip(NEXT) | instid1(VALU_DEP_2)
	v_and_b32_e32 v83, 0x3fc, v83
	v_and_b32_e32 v70, 0x3fc, v70
	global_load_b32 v82, v82, s[14:15]
	global_load_b32 v83, v83, s[12:13]
	s_wait_loadcnt 0x0
	v_xor_b32_e32 v82, v82, v83
	v_dual_lshrrev_b32 v83, 6, v71 :: v_dual_lshrrev_b32 v71, 14, v71
	s_delay_alu instid0(VALU_DEP_1) | instskip(NEXT) | instid1(VALU_DEP_2)
	v_and_b32_e32 v83, 0x3fc, v83
	v_and_b32_e32 v71, 0x3fc, v71
	global_load_b32 v80, v80, s[16:17] scale_offset
	global_load_b32 v83, v83, s[2:3]
	global_load_b32 v70, v70, s[14:15]
	;; [unrolled: 1-line block ×3, first 2 shown]
	s_wait_loadcnt 0x0
	v_dual_lshrrev_b32 v71, 6, v81 :: v_dual_bitop2_b32 v70, v70, v71 bitop3:0x14
	v_xor_b32_e32 v81, v79, v33
	v_xor3_b32 v80, v82, v83, v80
	v_bitop3_b32 v79, v79, 0xff, v33 bitop3:0x48
	s_delay_alu instid0(VALU_DEP_4) | instskip(NEXT) | instid1(VALU_DEP_4)
	v_and_b32_e32 v71, 0x3fc, v71
	v_lshrrev_b32_e32 v82, 14, v81
	global_load_b32 v69, v69, s[16:17] scale_offset
	global_load_b32 v71, v71, s[2:3]
	v_and_b32_e32 v82, 0x3fc, v82
	s_wait_loadcnt 0x0
	v_xor3_b32 v69, v70, v71, v69
	v_xor_b32_e32 v70, v72, v26
	v_bitop3_b32 v72, v72, 0xff, v26 bitop3:0x48
	s_delay_alu instid0(VALU_DEP_3) | instskip(NEXT) | instid1(VALU_DEP_3)
	v_bitop3_b32 v84, v69, 0xff, v34 bitop3:0x48
	v_lshrrev_b32_e32 v71, 22, v70
	s_delay_alu instid0(VALU_DEP_1)
	v_and_b32_e32 v71, 0x3fc, v71
	global_load_b32 v71, v71, s[14:15]
	global_load_b32 v82, v82, s[12:13]
	s_wait_loadcnt 0x0
	v_xor_b32_e32 v71, v71, v82
	v_xor_b32_e32 v82, v80, v9
	v_bitop3_b32 v80, v80, 0xff, v9 bitop3:0x48
	s_delay_alu instid0(VALU_DEP_2) | instskip(SKIP_1) | instid1(VALU_DEP_2)
	v_lshrrev_b32_e32 v83, 6, v82
	v_xor_b32_e32 v69, v69, v34
	v_and_b32_e32 v83, 0x3fc, v83
	global_load_b32 v84, v84, s[16:17] scale_offset
	global_load_b32 v83, v83, s[2:3]
	s_wait_loadcnt 0x0
	v_xor3_b32 v71, v71, v83, v84
	v_dual_lshrrev_b32 v83, 22, v81 :: v_dual_lshrrev_b32 v84, 14, v82
	v_lshrrev_b32_e32 v82, 22, v82
	s_delay_alu instid0(VALU_DEP_2) | instskip(NEXT) | instid1(VALU_DEP_3)
	v_and_b32_e32 v83, 0x3fc, v83
	v_and_b32_e32 v84, 0x3fc, v84
	global_load_b32 v83, v83, s[14:15]
	global_load_b32 v84, v84, s[12:13]
	s_wait_loadcnt 0x0
	v_dual_lshrrev_b32 v84, 6, v69 :: v_dual_bitop2_b32 v83, v83, v84 bitop3:0x14
	s_delay_alu instid0(VALU_DEP_1)
	v_and_b32_e32 v84, 0x3fc, v84
	global_load_b32 v72, v72, s[16:17] scale_offset
	global_load_b32 v84, v84, s[2:3]
	s_wait_loadcnt 0x0
	v_xor3_b32 v72, v83, v84, v72
	v_lshrrev_b32_e32 v83, 14, v69
	v_and_b32_e32 v82, 0x3fc, v82
	v_lshrrev_b32_e32 v69, 22, v69
	s_delay_alu instid0(VALU_DEP_3)
	v_and_b32_e32 v83, 0x3fc, v83
	global_load_b32 v82, v82, s[14:15]
	global_load_b32 v83, v83, s[12:13]
	s_wait_loadcnt 0x0
	v_dual_lshrrev_b32 v83, 6, v70 :: v_dual_bitop2_b32 v82, v82, v83 bitop3:0x14
	v_lshrrev_b32_e32 v70, 14, v70
	v_and_b32_e32 v69, 0x3fc, v69
	s_delay_alu instid0(VALU_DEP_3) | instskip(NEXT) | instid1(VALU_DEP_3)
	v_and_b32_e32 v83, 0x3fc, v83
	v_and_b32_e32 v70, 0x3fc, v70
	global_load_b32 v79, v79, s[16:17] scale_offset
	global_load_b32 v83, v83, s[2:3]
	global_load_b32 v69, v69, s[14:15]
	;; [unrolled: 1-line block ×3, first 2 shown]
	s_wait_loadcnt 0x2
	s_wait_xcnt 0x3
	v_xor3_b32 v79, v82, v83, v79
	s_wait_loadcnt 0x0
	v_dual_lshrrev_b32 v70, 6, v81 :: v_dual_bitop2_b32 v69, v69, v70 bitop3:0x14
	v_xor_b32_e32 v83, v71, v31
	v_bitop3_b32 v71, v71, 0xff, v31 bitop3:0x48
	s_delay_alu instid0(VALU_DEP_3) | instskip(SKIP_3) | instid1(VALU_DEP_1)
	v_and_b32_e32 v70, 0x3fc, v70
	global_load_b32 v80, v80, s[16:17] scale_offset
	global_load_b32 v70, v70, s[2:3]
	v_lshrrev_b32_e32 v84, 6, v83
	v_and_b32_e32 v84, 0x3fc, v84
	s_wait_loadcnt 0x0
	v_xor3_b32 v69, v69, v70, v80
	s_delay_alu instid0(VALU_DEP_1) | instskip(SKIP_3) | instid1(VALU_DEP_3)
	v_xor_b32_e32 v81, v69, v32
	v_xor_b32_e32 v70, v79, v8
	v_bitop3_b32 v69, v69, 0xff, v32 bitop3:0x48
	v_bitop3_b32 v79, v79, 0xff, v8 bitop3:0x48
	v_dual_lshrrev_b32 v82, 14, v81 :: v_dual_lshrrev_b32 v80, 22, v70
	s_delay_alu instid0(VALU_DEP_1) | instskip(NEXT) | instid1(VALU_DEP_2)
	v_and_b32_e32 v82, 0x3fc, v82
	v_and_b32_e32 v80, 0x3fc, v80
	global_load_b32 v80, v80, s[14:15]
	global_load_b32 v82, v82, s[12:13]
	;; [unrolled: 1-line block ×3, first 2 shown]
	s_wait_loadcnt 0x0
	v_xor3_b32 v80, v80, v82, v84
	v_xor_b32_e32 v84, v72, v47
	v_bitop3_b32 v72, v72, 0xff, v47 bitop3:0x48
	s_delay_alu instid0(VALU_DEP_2) | instskip(NEXT) | instid1(VALU_DEP_1)
	v_dual_lshrrev_b32 v85, 14, v84 :: v_dual_lshrrev_b32 v82, 22, v83
	v_and_b32_e32 v85, 0x3fc, v85
	s_delay_alu instid0(VALU_DEP_2)
	v_and_b32_e32 v82, 0x3fc, v82
	global_load_b32 v82, v82, s[14:15]
	global_load_b32 v85, v85, s[12:13]
	s_wait_loadcnt 0x0
	v_dual_lshrrev_b32 v85, 6, v70 :: v_dual_bitop2_b32 v82, v82, v85 bitop3:0x14
	v_lshrrev_b32_e32 v70, 14, v70
	s_delay_alu instid0(VALU_DEP_2) | instskip(NEXT) | instid1(VALU_DEP_2)
	v_and_b32_e32 v85, 0x3fc, v85
	v_and_b32_e32 v70, 0x3fc, v70
	global_load_b32 v69, v69, s[16:17] scale_offset
	global_load_b32 v85, v85, s[2:3]
	s_wait_loadcnt 0x0
	v_xor3_b32 v69, v82, v85, v69
	v_lshrrev_b32_e32 v82, 22, v84
	s_delay_alu instid0(VALU_DEP_1) | instskip(SKIP_4) | instid1(VALU_DEP_1)
	v_and_b32_e32 v82, 0x3fc, v82
	global_load_b32 v82, v82, s[14:15]
	global_load_b32 v70, v70, s[12:13]
	s_wait_loadcnt 0x0
	v_dual_lshrrev_b32 v82, 6, v81 :: v_dual_bitop2_b32 v70, v82, v70 bitop3:0x14
	v_and_b32_e32 v82, 0x3fc, v82
	global_load_b32 v71, v71, s[16:17] scale_offset
	global_load_b32 v82, v82, s[2:3]
	s_wait_loadcnt 0x0
	v_xor3_b32 v70, v70, v82, v71
	v_dual_lshrrev_b32 v71, 22, v81 :: v_dual_lshrrev_b32 v81, 14, v83
	v_xor_b32_e32 v83, v69, v49
	v_bitop3_b32 v69, v69, 0xff, v49 bitop3:0x48
	s_delay_alu instid0(VALU_DEP_3) | instskip(NEXT) | instid1(VALU_DEP_4)
	v_and_b32_e32 v71, 0x3fc, v71
	v_and_b32_e32 v81, 0x3fc, v81
	global_load_b32 v71, v71, s[14:15]
	global_load_b32 v81, v81, s[12:13]
	s_wait_loadcnt 0x0
	v_dual_lshrrev_b32 v81, 6, v84 :: v_dual_bitop2_b32 v71, v71, v81 bitop3:0x14
	v_lshrrev_b32_e32 v84, 6, v83
	s_delay_alu instid0(VALU_DEP_2)
	v_and_b32_e32 v81, 0x3fc, v81
	global_load_b32 v79, v79, s[16:17] scale_offset
	global_load_b32 v81, v81, s[2:3]
	global_load_b32 v72, v72, s[16:17] scale_offset
	v_and_b32_e32 v84, 0x3fc, v84
	s_wait_loadcnt 0x1
	v_xor3_b32 v71, v71, v81, v79
	s_wait_loadcnt 0x0
	v_xor3_b32 v72, v80, v72, v9
	s_delay_alu instid0(VALU_DEP_2) | instskip(NEXT) | instid1(VALU_DEP_2)
	v_xor_b32_e32 v81, v71, v46
	v_xor_b32_e32 v79, v72, v25
	v_bitop3_b32 v71, v71, 0xff, v46 bitop3:0x48
	v_bitop3_b32 v72, v72, 0xff, v25 bitop3:0x48
	s_delay_alu instid0(VALU_DEP_3) | instskip(NEXT) | instid1(VALU_DEP_1)
	v_dual_lshrrev_b32 v82, 14, v81 :: v_dual_lshrrev_b32 v80, 22, v79
	v_and_b32_e32 v82, 0x3fc, v82
	s_delay_alu instid0(VALU_DEP_2)
	v_and_b32_e32 v80, 0x3fc, v80
	global_load_b32 v80, v80, s[14:15]
	global_load_b32 v82, v82, s[12:13]
	;; [unrolled: 1-line block ×3, first 2 shown]
	s_wait_loadcnt 0x0
	v_xor3_b32 v80, v80, v82, v84
	v_dual_lshrrev_b32 v82, 22, v83 :: v_dual_bitop2_b32 v84, v70, v25 bitop3:0x14
	v_bitop3_b32 v70, v70, 0xff, v25 bitop3:0x48
	s_delay_alu instid0(VALU_DEP_2) | instskip(NEXT) | instid1(VALU_DEP_3)
	v_and_b32_e32 v82, 0x3fc, v82
	v_lshrrev_b32_e32 v85, 14, v84
	s_delay_alu instid0(VALU_DEP_1)
	v_and_b32_e32 v85, 0x3fc, v85
	global_load_b32 v82, v82, s[14:15]
	global_load_b32 v85, v85, s[12:13]
	s_wait_loadcnt 0x0
	v_dual_lshrrev_b32 v85, 6, v79 :: v_dual_bitop2_b32 v82, v82, v85 bitop3:0x14
	v_lshrrev_b32_e32 v79, 14, v79
	s_delay_alu instid0(VALU_DEP_2) | instskip(NEXT) | instid1(VALU_DEP_2)
	v_and_b32_e32 v85, 0x3fc, v85
	v_and_b32_e32 v79, 0x3fc, v79
	global_load_b32 v71, v71, s[16:17] scale_offset
	global_load_b32 v85, v85, s[2:3]
	s_wait_loadcnt 0x0
	v_xor3_b32 v71, v82, v85, v71
	v_lshrrev_b32_e32 v82, 22, v84
	s_delay_alu instid0(VALU_DEP_1) | instskip(SKIP_4) | instid1(VALU_DEP_1)
	v_and_b32_e32 v82, 0x3fc, v82
	global_load_b32 v82, v82, s[14:15]
	global_load_b32 v79, v79, s[12:13]
	s_wait_loadcnt 0x0
	v_dual_lshrrev_b32 v82, 6, v81 :: v_dual_bitop2_b32 v79, v82, v79 bitop3:0x14
	v_and_b32_e32 v82, 0x3fc, v82
	global_load_b32 v69, v69, s[16:17] scale_offset
	global_load_b32 v82, v82, s[2:3]
	s_wait_loadcnt 0x0
	v_xor3_b32 v69, v79, v82, v69
	v_dual_lshrrev_b32 v79, 22, v81 :: v_dual_lshrrev_b32 v81, 14, v83
	s_delay_alu instid0(VALU_DEP_1) | instskip(NEXT) | instid1(VALU_DEP_2)
	v_and_b32_e32 v79, 0x3fc, v79
	v_and_b32_e32 v81, 0x3fc, v81
	global_load_b32 v79, v79, s[14:15]
	global_load_b32 v81, v81, s[12:13]
	s_wait_loadcnt 0x0
	v_dual_lshrrev_b32 v81, 6, v84 :: v_dual_bitop2_b32 v79, v79, v81 bitop3:0x14
	s_delay_alu instid0(VALU_DEP_1)
	v_and_b32_e32 v81, 0x3fc, v81
	global_load_b32 v72, v72, s[16:17] scale_offset
	global_load_b32 v81, v81, s[2:3]
	global_load_b32 v70, v70, s[16:17] scale_offset
	s_wait_loadcnt 0x1
	s_wait_xcnt 0x2
	v_xor3_b32 v72, v79, v81, v72
	s_wait_loadcnt 0x0
	v_xor3_b32 v70, v80, v70, v8
	s_delay_alu instid0(VALU_DEP_2) | instskip(NEXT) | instid1(VALU_DEP_2)
	v_xor_b32_e32 v83, v72, v38
	v_xor_b32_e32 v81, v70, v35
	;; [unrolled: 1-line block ×3, first 2 shown]
	v_bitop3_b32 v72, v72, 0xff, v38 bitop3:0x48
	v_bitop3_b32 v69, v69, 0xff, v35 bitop3:0x48
	;; [unrolled: 1-line block ×3, first 2 shown]
	s_delay_alu instid0(VALU_DEP_4) | instskip(SKIP_1) | instid1(VALU_DEP_2)
	v_dual_lshrrev_b32 v82, 14, v81 :: v_dual_lshrrev_b32 v80, 22, v79
	v_lshrrev_b32_e32 v84, 6, v83
	v_and_b32_e32 v82, 0x3fc, v82
	s_delay_alu instid0(VALU_DEP_3) | instskip(NEXT) | instid1(VALU_DEP_3)
	v_and_b32_e32 v80, 0x3fc, v80
	v_and_b32_e32 v84, 0x3fc, v84
	global_load_b32 v80, v80, s[14:15]
	global_load_b32 v82, v82, s[12:13]
	;; [unrolled: 1-line block ×3, first 2 shown]
	s_wait_loadcnt 0x0
	v_xor3_b32 v80, v80, v82, v84
	v_xor_b32_e32 v82, v71, v36
	v_bitop3_b32 v71, v71, 0xff, v36 bitop3:0x48
	s_delay_alu instid0(VALU_DEP_2) | instskip(SKIP_1) | instid1(VALU_DEP_2)
	v_dual_lshrrev_b32 v84, 22, v82 :: v_dual_lshrrev_b32 v85, 14, v79
	v_lshrrev_b32_e32 v79, 6, v79
	v_and_b32_e32 v84, 0x3fc, v84
	s_delay_alu instid0(VALU_DEP_3)
	v_and_b32_e32 v85, 0x3fc, v85
	global_load_b32 v84, v84, s[14:15]
	global_load_b32 v85, v85, s[12:13]
	v_and_b32_e32 v79, 0x3fc, v79
	s_wait_loadcnt 0x0
	v_xor_b32_e32 v84, v84, v85
	v_dual_lshrrev_b32 v85, 6, v81 :: v_dual_lshrrev_b32 v81, 22, v81
	s_delay_alu instid0(VALU_DEP_1)
	v_and_b32_e32 v85, 0x3fc, v85
	global_load_b32 v72, v72, s[16:17] scale_offset
	global_load_b32 v85, v85, s[2:3]
	v_and_b32_e32 v81, 0x3fc, v81
	s_wait_loadcnt 0x0
	v_xor3_b32 v72, v84, v85, v72
	v_lshrrev_b32_e32 v84, 14, v83
	s_delay_alu instid0(VALU_DEP_1)
	v_and_b32_e32 v84, 0x3fc, v84
	global_load_b32 v81, v81, s[14:15]
	global_load_b32 v84, v84, s[12:13]
	s_wait_loadcnt 0x0
	v_dual_lshrrev_b32 v84, 6, v82 :: v_dual_bitop2_b32 v81, v81, v84 bitop3:0x14
	v_lshrrev_b32_e32 v82, 14, v82
	s_delay_alu instid0(VALU_DEP_2)
	v_and_b32_e32 v84, 0x3fc, v84
	global_load_b32 v69, v69, s[16:17] scale_offset
	global_load_b32 v84, v84, s[2:3]
	v_and_b32_e32 v82, 0x3fc, v82
	s_wait_loadcnt 0x0
	v_xor3_b32 v69, v81, v84, v69
	v_lshrrev_b32_e32 v81, 22, v83
	s_delay_alu instid0(VALU_DEP_1)
	v_and_b32_e32 v81, 0x3fc, v81
	global_load_b32 v81, v81, s[14:15]
	global_load_b32 v82, v82, s[12:13]
	global_load_b32 v70, v70, s[16:17] scale_offset
	global_load_b32 v79, v79, s[2:3]
	global_load_b32 v71, v71, s[16:17] scale_offset
	s_wait_loadcnt 0x3
	s_wait_xcnt 0x4
	v_xor_b32_e32 v81, v81, v82
	s_wait_loadcnt 0x0
	v_xor3_b32 v71, v80, v71, v25
	s_delay_alu instid0(VALU_DEP_2) | instskip(NEXT) | instid1(VALU_DEP_2)
	v_xor3_b32 v70, v81, v79, v70
	v_xor_b32_e32 v81, v71, v50
	v_xor_b32_e32 v79, v72, v50
	v_bitop3_b32 v72, v72, 0xff, v50 bitop3:0x48
	s_delay_alu instid0(VALU_DEP_4) | instskip(SKIP_1) | instid1(VALU_DEP_4)
	v_bitop3_b32 v84, v70, 0xff, v54 bitop3:0x48
	v_bitop3_b32 v71, v71, 0xff, v50 bitop3:0x48
	v_dual_lshrrev_b32 v82, 14, v81 :: v_dual_lshrrev_b32 v80, 22, v79
	v_xor_b32_e32 v70, v70, v54
	s_delay_alu instid0(VALU_DEP_2) | instskip(NEXT) | instid1(VALU_DEP_3)
	v_and_b32_e32 v82, 0x3fc, v82
	v_and_b32_e32 v80, 0x3fc, v80
	global_load_b32 v80, v80, s[14:15]
	global_load_b32 v82, v82, s[12:13]
	s_wait_loadcnt 0x0
	v_xor_b32_e32 v80, v80, v82
	v_xor_b32_e32 v82, v69, v27
	v_bitop3_b32 v69, v69, 0xff, v27 bitop3:0x48
	s_delay_alu instid0(VALU_DEP_2) | instskip(NEXT) | instid1(VALU_DEP_1)
	v_lshrrev_b32_e32 v83, 6, v82
	v_and_b32_e32 v83, 0x3fc, v83
	global_load_b32 v84, v84, s[16:17] scale_offset
	global_load_b32 v83, v83, s[2:3]
	s_wait_loadcnt 0x0
	v_xor3_b32 v80, v80, v83, v84
	v_dual_lshrrev_b32 v83, 22, v81 :: v_dual_lshrrev_b32 v84, 14, v82
	s_delay_alu instid0(VALU_DEP_1) | instskip(NEXT) | instid1(VALU_DEP_2)
	v_and_b32_e32 v83, 0x3fc, v83
	v_and_b32_e32 v84, 0x3fc, v84
	global_load_b32 v83, v83, s[14:15]
	global_load_b32 v84, v84, s[12:13]
	s_wait_loadcnt 0x0
	v_dual_lshrrev_b32 v84, 6, v70 :: v_dual_bitop2_b32 v83, v83, v84 bitop3:0x14
	v_lshrrev_b32_e32 v82, 22, v82
	s_delay_alu instid0(VALU_DEP_2) | instskip(NEXT) | instid1(VALU_DEP_2)
	v_and_b32_e32 v84, 0x3fc, v84
	v_and_b32_e32 v82, 0x3fc, v82
	global_load_b32 v72, v72, s[16:17] scale_offset
	global_load_b32 v84, v84, s[2:3]
	s_wait_loadcnt 0x0
	v_xor3_b32 v72, v83, v84, v72
	v_lshrrev_b32_e32 v83, 14, v70
	s_delay_alu instid0(VALU_DEP_1)
	v_and_b32_e32 v83, 0x3fc, v83
	global_load_b32 v82, v82, s[14:15]
	global_load_b32 v83, v83, s[12:13]
	s_wait_loadcnt 0x0
	v_xor_b32_e32 v82, v82, v83
	v_dual_lshrrev_b32 v83, 6, v79 :: v_dual_lshrrev_b32 v79, 14, v79
	v_lshrrev_b32_e32 v70, 22, v70
	s_delay_alu instid0(VALU_DEP_2) | instskip(NEXT) | instid1(VALU_DEP_3)
	v_and_b32_e32 v83, 0x3fc, v83
	v_and_b32_e32 v79, 0x3fc, v79
	s_delay_alu instid0(VALU_DEP_3)
	v_and_b32_e32 v70, 0x3fc, v70
	global_load_b32 v71, v71, s[16:17] scale_offset
	global_load_b32 v83, v83, s[2:3]
	global_load_b32 v70, v70, s[14:15]
	;; [unrolled: 1-line block ×3, first 2 shown]
	s_wait_loadcnt 0x0
	v_dual_lshrrev_b32 v79, 6, v81 :: v_dual_bitop2_b32 v70, v70, v79 bitop3:0x14
	v_xor3_b32 v71, v82, v83, v71
	v_xor_b32_e32 v83, v80, v40
	v_bitop3_b32 v80, v80, 0xff, v40 bitop3:0x48
	s_delay_alu instid0(VALU_DEP_4) | instskip(SKIP_3) | instid1(VALU_DEP_1)
	v_and_b32_e32 v79, 0x3fc, v79
	global_load_b32 v69, v69, s[16:17] scale_offset
	global_load_b32 v79, v79, s[2:3]
	v_lshrrev_b32_e32 v84, 6, v83
	v_and_b32_e32 v84, 0x3fc, v84
	s_wait_loadcnt 0x0
	v_xor3_b32 v69, v70, v79, v69
	s_delay_alu instid0(VALU_DEP_1) | instskip(SKIP_3) | instid1(VALU_DEP_3)
	v_xor_b32_e32 v81, v69, v42
	v_xor_b32_e32 v70, v71, v23
	v_bitop3_b32 v69, v69, 0xff, v42 bitop3:0x48
	v_bitop3_b32 v71, v71, 0xff, v23 bitop3:0x48
	v_dual_lshrrev_b32 v82, 14, v81 :: v_dual_lshrrev_b32 v79, 22, v70
	s_delay_alu instid0(VALU_DEP_1) | instskip(NEXT) | instid1(VALU_DEP_2)
	v_and_b32_e32 v82, 0x3fc, v82
	v_and_b32_e32 v79, 0x3fc, v79
	global_load_b32 v79, v79, s[14:15]
	global_load_b32 v82, v82, s[12:13]
	;; [unrolled: 1-line block ×3, first 2 shown]
	s_wait_loadcnt 0x0
	v_xor3_b32 v79, v79, v82, v84
	v_xor_b32_e32 v84, v72, v55
	v_lshrrev_b32_e32 v82, 22, v83
	v_bitop3_b32 v72, v72, 0xff, v55 bitop3:0x48
	s_delay_alu instid0(VALU_DEP_3) | instskip(NEXT) | instid1(VALU_DEP_3)
	v_lshrrev_b32_e32 v85, 14, v84
	v_and_b32_e32 v82, 0x3fc, v82
	s_delay_alu instid0(VALU_DEP_2)
	v_and_b32_e32 v85, 0x3fc, v85
	global_load_b32 v82, v82, s[14:15]
	global_load_b32 v85, v85, s[12:13]
	s_wait_loadcnt 0x0
	v_dual_lshrrev_b32 v85, 6, v70 :: v_dual_bitop2_b32 v82, v82, v85 bitop3:0x14
	v_lshrrev_b32_e32 v70, 14, v70
	s_delay_alu instid0(VALU_DEP_2) | instskip(NEXT) | instid1(VALU_DEP_2)
	v_and_b32_e32 v85, 0x3fc, v85
	v_and_b32_e32 v70, 0x3fc, v70
	global_load_b32 v69, v69, s[16:17] scale_offset
	global_load_b32 v85, v85, s[2:3]
	s_wait_loadcnt 0x0
	v_xor3_b32 v69, v82, v85, v69
	v_lshrrev_b32_e32 v82, 22, v84
	s_delay_alu instid0(VALU_DEP_1) | instskip(SKIP_4) | instid1(VALU_DEP_1)
	v_and_b32_e32 v82, 0x3fc, v82
	global_load_b32 v82, v82, s[14:15]
	global_load_b32 v70, v70, s[12:13]
	s_wait_loadcnt 0x0
	v_dual_lshrrev_b32 v82, 6, v81 :: v_dual_bitop2_b32 v70, v82, v70 bitop3:0x14
	v_and_b32_e32 v82, 0x3fc, v82
	global_load_b32 v80, v80, s[16:17] scale_offset
	global_load_b32 v82, v82, s[2:3]
	s_wait_loadcnt 0x0
	v_xor3_b32 v70, v70, v82, v80
	v_dual_lshrrev_b32 v80, 22, v81 :: v_dual_lshrrev_b32 v81, 14, v83
	v_xor_b32_e32 v83, v69, v56
	v_bitop3_b32 v69, v69, 0xff, v56 bitop3:0x48
	s_delay_alu instid0(VALU_DEP_3) | instskip(NEXT) | instid1(VALU_DEP_4)
	v_and_b32_e32 v80, 0x3fc, v80
	v_and_b32_e32 v81, 0x3fc, v81
	global_load_b32 v80, v80, s[14:15]
	global_load_b32 v81, v81, s[12:13]
	s_wait_loadcnt 0x0
	v_dual_lshrrev_b32 v81, 6, v84 :: v_dual_bitop2_b32 v80, v80, v81 bitop3:0x14
	v_lshrrev_b32_e32 v84, 6, v83
	s_delay_alu instid0(VALU_DEP_2)
	v_and_b32_e32 v81, 0x3fc, v81
	global_load_b32 v71, v71, s[16:17] scale_offset
	global_load_b32 v81, v81, s[2:3]
	global_load_b32 v72, v72, s[16:17] scale_offset
	v_and_b32_e32 v84, 0x3fc, v84
	s_wait_loadcnt 0x1
	s_wait_xcnt 0x2
	v_xor3_b32 v71, v80, v81, v71
	s_wait_loadcnt 0x0
	v_xor3_b32 v72, v79, v72, v27
	s_delay_alu instid0(VALU_DEP_2) | instskip(NEXT) | instid1(VALU_DEP_2)
	v_xor_b32_e32 v81, v71, v52
	v_xor_b32_e32 v80, v72, v28
	v_bitop3_b32 v71, v71, 0xff, v52 bitop3:0x48
	v_bitop3_b32 v72, v72, 0xff, v28 bitop3:0x48
	s_delay_alu instid0(VALU_DEP_3) | instskip(NEXT) | instid1(VALU_DEP_1)
	v_dual_lshrrev_b32 v82, 14, v81 :: v_dual_lshrrev_b32 v79, 22, v80
	v_and_b32_e32 v82, 0x3fc, v82
	s_delay_alu instid0(VALU_DEP_2)
	v_and_b32_e32 v79, 0x3fc, v79
	global_load_b32 v79, v79, s[14:15]
	global_load_b32 v82, v82, s[12:13]
	;; [unrolled: 1-line block ×3, first 2 shown]
	s_wait_loadcnt 0x0
	v_xor3_b32 v84, v79, v82, v84
	v_xor_b32_e32 v82, v70, v28
	s_delay_alu instid0(VALU_DEP_1) | instskip(NEXT) | instid1(VALU_DEP_1)
	v_dual_lshrrev_b32 v85, 14, v82 :: v_dual_lshrrev_b32 v79, 22, v83
	v_and_b32_e32 v85, 0x3fc, v85
	s_delay_alu instid0(VALU_DEP_2) | instskip(SKIP_4) | instid1(VALU_DEP_1)
	v_and_b32_e32 v79, 0x3fc, v79
	global_load_b32 v79, v79, s[14:15]
	global_load_b32 v85, v85, s[12:13]
	s_wait_loadcnt 0x0
	v_dual_lshrrev_b32 v85, 6, v80 :: v_dual_bitop2_b32 v79, v79, v85 bitop3:0x14
	v_and_b32_e32 v85, 0x3fc, v85
	global_load_b32 v71, v71, s[16:17] scale_offset
	global_load_b32 v85, v85, s[2:3]
	s_wait_loadcnt 0x0
	v_xor3_b32 v79, v79, v85, v71
	v_dual_lshrrev_b32 v71, 14, v80 :: v_dual_lshrrev_b32 v80, 22, v82
	s_delay_alu instid0(VALU_DEP_1) | instskip(NEXT) | instid1(VALU_DEP_2)
	v_and_b32_e32 v71, 0x3fc, v71
	v_and_b32_e32 v80, 0x3fc, v80
	global_load_b32 v80, v80, s[14:15]
	global_load_b32 v71, v71, s[12:13]
	s_wait_loadcnt 0x0
	v_dual_lshrrev_b32 v80, 6, v81 :: v_dual_bitop2_b32 v71, v80, v71 bitop3:0x14
	s_delay_alu instid0(VALU_DEP_1)
	v_and_b32_e32 v80, 0x3fc, v80
	global_load_b32 v69, v69, s[16:17] scale_offset
	global_load_b32 v80, v80, s[2:3]
	s_wait_loadcnt 0x0
	v_xor3_b32 v80, v71, v80, v69
	v_dual_lshrrev_b32 v69, 22, v81 :: v_dual_lshrrev_b32 v71, 14, v83
	s_delay_alu instid0(VALU_DEP_2) | instskip(NEXT) | instid1(VALU_DEP_2)
	v_xor_b32_e32 v83, v80, v37
	v_and_b32_e32 v69, 0x3fc, v69
	s_delay_alu instid0(VALU_DEP_3)
	v_and_b32_e32 v71, 0x3fc, v71
	global_load_b32 v69, v69, s[14:15]
	global_load_b32 v71, v71, s[12:13]
	v_bitop3_b32 v80, v80, 0xff, v37 bitop3:0x48
	s_wait_loadcnt 0x0
	v_dual_lshrrev_b32 v71, 6, v82 :: v_dual_bitop2_b32 v69, v69, v71 bitop3:0x14
	s_delay_alu instid0(VALU_DEP_1)
	v_and_b32_e32 v71, 0x3fc, v71
	global_load_b32 v72, v72, s[16:17] scale_offset
	global_load_b32 v71, v71, s[2:3]
	s_wait_loadcnt 0x0
	v_xor3_b32 v82, v69, v71, v72
	v_bitop3_b32 v69, v70, 0xff, v28 bitop3:0x48
	v_dual_lshrrev_b32 v70, 14, v77 :: v_dual_lshrrev_b32 v71, 6, v78
	v_bitop3_b32 v72, v75, 0xff, v25 bitop3:0x48
	v_xor_b32_e32 v78, v51, v35
	global_load_b32 v69, v69, s[16:17] scale_offset
	v_and_b32_e32 v75, 0x3fc, v70
	v_and_b32_e32 v71, 0x3fc, v71
	v_lshrrev_b32_e32 v77, 14, v78
	s_delay_alu instid0(VALU_DEP_1) | instskip(SKIP_3) | instid1(VALU_DEP_2)
	v_and_b32_e32 v77, 0x3fc, v77
	s_wait_loadcnt 0x0
	v_xor3_b32 v81, v84, v69, v23
	v_dual_lshrrev_b32 v69, 22, v76 :: v_dual_lshrrev_b32 v84, 14, v83
	v_xor_b32_e32 v85, v81, v37
	s_delay_alu instid0(VALU_DEP_2)
	v_and_b32_e32 v69, 0x3fc, v69
	global_load_b32 v70, v72, s[16:17] scale_offset
	global_load_b32 v72, v69, s[14:15]
	global_load_b32 v75, v75, s[12:13]
	;; [unrolled: 1-line block ×3, first 2 shown]
	s_wait_xcnt 0x2
	v_xor_b32_e32 v69, v48, v36
	v_bitop3_b32 v81, v81, 0xff, v37 bitop3:0x48
	v_and_b32_e32 v89, 0x3fc, v84
	v_dual_lshrrev_b32 v84, 22, v83 :: v_dual_lshrrev_b32 v83, 6, v83
	s_delay_alu instid0(VALU_DEP_4) | instskip(NEXT) | instid1(VALU_DEP_2)
	v_lshrrev_b32_e32 v76, 22, v69
	v_and_b32_e32 v86, 0x3fc, v84
	v_lshrrev_b32_e32 v84, 14, v85
	s_delay_alu instid0(VALU_DEP_3) | instskip(SKIP_1) | instid1(VALU_DEP_3)
	v_and_b32_e32 v76, 0x3fc, v76
	v_and_b32_e32 v83, 0x3fc, v83
	;; [unrolled: 1-line block ×3, first 2 shown]
	v_xor_b32_e32 v84, v82, v7
	global_load_b32 v76, v76, s[14:15]
	v_bitop3_b32 v82, v82, 0xff, v7 bitop3:0x48
	v_lshrrev_b32_e32 v88, 6, v84
	s_delay_alu instid0(VALU_DEP_1)
	v_and_b32_e32 v88, 0x3fc, v88
	s_clause 0x1
	global_load_b32 v77, v77, s[12:13]
	global_load_b32 v89, v89, s[12:13]
	;; [unrolled: 1-line block ×5, first 2 shown]
	s_wait_loadcnt 0x0
	v_xor3_b32 v86, v86, v87, v88
	v_xor_b32_e32 v87, v79, v39
	v_bitop3_b32 v79, v79, 0xff, v39 bitop3:0x48
	s_delay_alu instid0(VALU_DEP_2) | instskip(NEXT) | instid1(VALU_DEP_1)
	v_lshrrev_b32_e32 v88, 22, v87
	v_and_b32_e32 v88, 0x3fc, v88
	global_load_b32 v88, v88, s[14:15]
	s_wait_loadcnt 0x0
	v_xor_b32_e32 v88, v88, v89
	v_dual_lshrrev_b32 v89, 6, v85 :: v_dual_lshrrev_b32 v85, 22, v85
	s_delay_alu instid0(VALU_DEP_1)
	v_and_b32_e32 v89, 0x3fc, v89
	global_load_b32 v89, v89, s[2:3]
	global_load_b32 v82, v82, s[16:17] scale_offset
	v_and_b32_e32 v85, 0x3fc, v85
	s_wait_loadcnt 0x0
	v_xor3_b32 v82, v88, v89, v82
	v_dual_lshrrev_b32 v88, 14, v84 :: v_dual_lshrrev_b32 v84, 22, v84
	s_delay_alu instid0(VALU_DEP_1)
	v_and_b32_e32 v88, 0x3fc, v88
	global_load_b32 v85, v85, s[14:15]
	global_load_b32 v88, v88, s[12:13]
	v_and_b32_e32 v84, 0x3fc, v84
	s_wait_loadcnt 0x0
	v_dual_lshrrev_b32 v88, 6, v87 :: v_dual_bitop2_b32 v85, v85, v88 bitop3:0x14
	s_delay_alu instid0(VALU_DEP_1)
	v_and_b32_e32 v88, 0x3fc, v88
	global_load_b32 v88, v88, s[2:3]
	global_load_b32 v80, v80, s[16:17] scale_offset
	s_wait_loadcnt 0x0
	v_xor3_b32 v80, v85, v88, v80
	v_lshrrev_b32_e32 v85, 14, v87
	s_delay_alu instid0(VALU_DEP_1)
	v_and_b32_e32 v85, 0x3fc, v85
	global_load_b32 v84, v84, s[14:15]
	global_load_b32 v85, v85, s[12:13]
	;; [unrolled: 1-line block ×3, first 2 shown]
	s_clause 0x1
	global_load_b32 v81, v81, s[16:17] scale_offset
	global_load_b32 v79, v79, s[16:17] scale_offset
	s_wait_loadcnt 0x3
	s_wait_xcnt 0x4
	v_xor_b32_e32 v84, v84, v85
	s_wait_loadcnt 0x0
	v_xor3_b32 v79, v86, v79, v28
	s_delay_alu instid0(VALU_DEP_2) | instskip(SKIP_2) | instid1(VALU_DEP_4)
	v_xor3_b32 v81, v84, v83, v81
	v_xor_b32_e32 v83, v82, v29
	v_bitop3_b32 v82, v82, 0xff, v29 bitop3:0x48
	v_xor_b32_e32 v85, v79, v29
	v_bitop3_b32 v79, v79, 0xff, v29 bitop3:0x48
	v_bitop3_b32 v88, v81, 0xff, v53 bitop3:0x48
	v_dual_lshrrev_b32 v84, 22, v83 :: v_dual_bitop2_b32 v81, v81, v53 bitop3:0x14
	s_delay_alu instid0(VALU_DEP_4) | instskip(NEXT) | instid1(VALU_DEP_2)
	v_lshrrev_b32_e32 v86, 14, v85
	v_and_b32_e32 v84, 0x3fc, v84
	s_delay_alu instid0(VALU_DEP_2)
	v_and_b32_e32 v86, 0x3fc, v86
	global_load_b32 v84, v84, s[14:15]
	global_load_b32 v86, v86, s[12:13]
	s_wait_loadcnt 0x0
	v_xor_b32_e32 v84, v84, v86
	v_xor_b32_e32 v86, v80, v30
	v_bitop3_b32 v80, v80, 0xff, v30 bitop3:0x48
	s_delay_alu instid0(VALU_DEP_2) | instskip(NEXT) | instid1(VALU_DEP_1)
	v_lshrrev_b32_e32 v87, 6, v86
	v_and_b32_e32 v87, 0x3fc, v87
	global_load_b32 v88, v88, s[16:17] scale_offset
	global_load_b32 v87, v87, s[2:3]
	s_wait_loadcnt 0x0
	v_xor3_b32 v84, v84, v87, v88
	v_dual_lshrrev_b32 v87, 22, v85 :: v_dual_lshrrev_b32 v88, 14, v86
	s_delay_alu instid0(VALU_DEP_1) | instskip(NEXT) | instid1(VALU_DEP_2)
	v_and_b32_e32 v87, 0x3fc, v87
	v_and_b32_e32 v88, 0x3fc, v88
	global_load_b32 v87, v87, s[14:15]
	global_load_b32 v88, v88, s[12:13]
	s_wait_loadcnt 0x0
	v_dual_lshrrev_b32 v88, 6, v81 :: v_dual_bitop2_b32 v87, v87, v88 bitop3:0x14
	v_lshrrev_b32_e32 v86, 22, v86
	s_delay_alu instid0(VALU_DEP_2) | instskip(NEXT) | instid1(VALU_DEP_2)
	v_and_b32_e32 v88, 0x3fc, v88
	v_and_b32_e32 v86, 0x3fc, v86
	global_load_b32 v82, v82, s[16:17] scale_offset
	global_load_b32 v88, v88, s[2:3]
	s_wait_loadcnt 0x0
	v_xor3_b32 v82, v87, v88, v82
	v_lshrrev_b32_e32 v87, 14, v81
	s_delay_alu instid0(VALU_DEP_1)
	v_and_b32_e32 v87, 0x3fc, v87
	global_load_b32 v86, v86, s[14:15]
	global_load_b32 v87, v87, s[12:13]
	s_wait_loadcnt 0x0
	v_xor_b32_e32 v86, v86, v87
	v_dual_lshrrev_b32 v87, 6, v83 :: v_dual_lshrrev_b32 v81, 22, v81
	v_lshrrev_b32_e32 v83, 14, v83
	s_delay_alu instid0(VALU_DEP_2) | instskip(NEXT) | instid1(VALU_DEP_3)
	v_and_b32_e32 v87, 0x3fc, v87
	v_and_b32_e32 v81, 0x3fc, v81
	s_delay_alu instid0(VALU_DEP_3)
	v_and_b32_e32 v83, 0x3fc, v83
	global_load_b32 v79, v79, s[16:17] scale_offset
	global_load_b32 v87, v87, s[2:3]
	global_load_b32 v81, v81, s[14:15]
	;; [unrolled: 1-line block ×3, first 2 shown]
	s_wait_loadcnt 0x0
	v_dual_lshrrev_b32 v83, 6, v85 :: v_dual_bitop2_b32 v81, v81, v83 bitop3:0x14
	v_xor3_b32 v79, v86, v87, v79
	s_delay_alu instid0(VALU_DEP_2) | instskip(NEXT) | instid1(VALU_DEP_2)
	v_and_b32_e32 v83, 0x3fc, v83
	v_xor_b32_e32 v87, v79, v21
	v_xor_b32_e32 v85, v82, v57
	v_bitop3_b32 v79, v79, 0xff, v21 bitop3:0x48
	global_load_b32 v80, v80, s[16:17] scale_offset
	global_load_b32 v83, v83, s[2:3]
	v_dual_lshrrev_b32 v88, 6, v87 :: v_dual_lshrrev_b32 v86, 14, v85
	s_delay_alu instid0(VALU_DEP_1) | instskip(NEXT) | instid1(VALU_DEP_2)
	v_and_b32_e32 v88, 0x3fc, v88
	v_and_b32_e32 v86, 0x3fc, v86
	s_wait_loadcnt 0x0
	v_xor3_b32 v80, v81, v83, v80
	v_xor_b32_e32 v81, v84, v41
	v_bitop3_b32 v84, v84, 0xff, v41 bitop3:0x48
	s_delay_alu instid0(VALU_DEP_2) | instskip(SKIP_1) | instid1(VALU_DEP_2)
	v_dual_lshrrev_b32 v83, 22, v81 :: v_dual_lshrrev_b32 v90, 6, v81
	v_lshrrev_b32_e32 v81, 14, v81
	v_and_b32_e32 v83, 0x3fc, v83
	global_load_b32 v83, v83, s[14:15]
	global_load_b32 v86, v86, s[12:13]
	;; [unrolled: 1-line block ×3, first 2 shown]
	v_and_b32_e32 v90, 0x3fc, v90
	v_and_b32_e32 v81, 0x3fc, v81
	s_wait_loadcnt 0x0
	v_xor3_b32 v83, v83, v86, v88
	v_xor_b32_e32 v88, v80, v43
	v_bitop3_b32 v80, v80, 0xff, v43 bitop3:0x48
	s_delay_alu instid0(VALU_DEP_2) | instskip(SKIP_1) | instid1(VALU_DEP_2)
	v_dual_lshrrev_b32 v89, 14, v88 :: v_dual_lshrrev_b32 v86, 22, v87
	v_lshrrev_b32_e32 v87, 14, v87
	v_and_b32_e32 v89, 0x3fc, v89
	s_delay_alu instid0(VALU_DEP_3)
	v_and_b32_e32 v86, 0x3fc, v86
	global_load_b32 v86, v86, s[14:15]
	global_load_b32 v89, v89, s[12:13]
	;; [unrolled: 1-line block ×3, first 2 shown]
	s_wait_loadcnt 0x0
	v_xor3_b32 v86, v86, v89, v90
	v_lshrrev_b32_e32 v89, 22, v85
	v_and_b32_e32 v87, 0x3fc, v87
	v_lshrrev_b32_e32 v85, 6, v85
	s_delay_alu instid0(VALU_DEP_3)
	v_and_b32_e32 v89, 0x3fc, v89
	global_load_b32 v89, v89, s[14:15]
	global_load_b32 v87, v87, s[12:13]
	v_and_b32_e32 v85, 0x3fc, v85
	s_wait_loadcnt 0x0
	v_dual_lshrrev_b32 v89, 6, v88 :: v_dual_bitop2_b32 v87, v89, v87 bitop3:0x14
	s_delay_alu instid0(VALU_DEP_1)
	v_and_b32_e32 v89, 0x3fc, v89
	global_load_b32 v84, v84, s[16:17] scale_offset
	global_load_b32 v89, v89, s[2:3]
	s_wait_loadcnt 0x0
	v_xor3_b32 v84, v87, v89, v84
	v_lshrrev_b32_e32 v87, 22, v88
	s_delay_alu instid0(VALU_DEP_1)
	v_and_b32_e32 v87, 0x3fc, v87
	global_load_b32 v87, v87, s[14:15]
	global_load_b32 v81, v81, s[12:13]
	global_load_b32 v79, v79, s[16:17] scale_offset
	global_load_b32 v85, v85, s[2:3]
	global_load_b32 v80, v80, s[16:17] scale_offset
	s_wait_loadcnt 0x3
	s_wait_xcnt 0x3
	v_xor_b32_e32 v81, v87, v81
	s_wait_loadcnt 0x1
	s_wait_xcnt 0x2
	s_delay_alu instid0(VALU_DEP_1) | instskip(SKIP_1) | instid1(VALU_DEP_2)
	v_xor3_b32 v79, v81, v85, v79
	v_bitop3_b32 v81, v82, 0xff, v57 bitop3:0x48
	v_bitop3_b32 v88, v79, 0xff, v45 bitop3:0x48
	global_load_b32 v81, v81, s[16:17] scale_offset
	s_wait_loadcnt 0x1
	s_wait_xcnt 0x1
	v_xor3_b32 v80, v83, v80, v29
	v_xor_b32_e32 v79, v79, v45
	v_xor_b32_e32 v85, v84, v58
	v_bitop3_b32 v84, v84, 0xff, v58 bitop3:0x48
	s_delay_alu instid0(VALU_DEP_4) | instskip(SKIP_1) | instid1(VALU_DEP_2)
	v_xor_b32_e32 v82, v80, v44
	v_bitop3_b32 v80, v80, 0xff, v44 bitop3:0x48
	v_lshrrev_b32_e32 v83, 22, v82
	s_delay_alu instid0(VALU_DEP_1) | instskip(SKIP_3) | instid1(VALU_DEP_1)
	v_and_b32_e32 v83, 0x3fc, v83
	s_wait_loadcnt 0x0
	v_xor3_b32 v81, v86, v81, v30
	v_lshrrev_b32_e32 v86, 14, v85
	v_and_b32_e32 v86, 0x3fc, v86
	global_load_b32 v83, v83, s[2:3]
	global_load_b32 v86, v86, s[16:17]
	s_wait_loadcnt 0x0
	v_perm_b32 v83, v83, v86, 0x7020c0c
	v_xor_b32_e32 v86, v81, v58
	v_bitop3_b32 v81, v81, 0xff, v58 bitop3:0x48
	s_delay_alu instid0(VALU_DEP_2) | instskip(NEXT) | instid1(VALU_DEP_1)
	v_lshrrev_b32_e32 v87, 6, v86
	v_and_b32_e32 v87, 0x3fc, v87
	global_load_b32 v88, v88, s[12:13] scale_offset
	global_load_b32 v87, v87, s[14:15]
	s_wait_loadcnt 0x1
	s_wait_xcnt 0x1
	v_and_b32_e32 v88, 0xff, v88
	s_wait_loadcnt 0x0
	v_and_b32_e32 v87, 0xff00, v87
	s_delay_alu instid0(VALU_DEP_1) | instskip(SKIP_1) | instid1(VALU_DEP_2)
	v_or3_b32 v83, v83, v87, v88
	v_dual_lshrrev_b32 v87, 22, v85 :: v_dual_lshrrev_b32 v88, 14, v86
	v_xor3_b32 v5, v5, v83, v17
	s_delay_alu instid0(VALU_DEP_2) | instskip(NEXT) | instid1(VALU_DEP_3)
	v_and_b32_e32 v87, 0x3fc, v87
	v_and_b32_e32 v88, 0x3fc, v88
	global_load_b32 v87, v87, s[2:3]
	global_load_b32 v88, v88, s[16:17]
	v_xor_b32_e32 v65, v5, v74
	v_bitop3_b32 v5, v5, 0xff, v74 bitop3:0x48
	s_delay_alu instid0(VALU_DEP_2) | instskip(NEXT) | instid1(VALU_DEP_1)
	v_lshrrev_b32_e32 v66, 22, v65
	v_and_b32_e32 v66, 0x3fc, v66
	s_wait_loadcnt 0x0
	v_perm_b32 v87, v87, v88, 0x7020c0c
	v_lshrrev_b32_e32 v88, 6, v79
	s_delay_alu instid0(VALU_DEP_1)
	v_and_b32_e32 v88, 0x3fc, v88
	global_load_b32 v80, v80, s[12:13] scale_offset
	global_load_b32 v88, v88, s[14:15]
	s_wait_loadcnt 0x1
	s_wait_xcnt 0x1
	v_and_b32_e32 v80, 0xff, v80
	s_wait_loadcnt 0x0
	v_and_b32_e32 v88, 0xff00, v88
	s_delay_alu instid0(VALU_DEP_1) | instskip(SKIP_2) | instid1(VALU_DEP_3)
	v_or3_b32 v80, v87, v88, v80
	v_dual_lshrrev_b32 v87, 14, v79 :: v_dual_lshrrev_b32 v86, 22, v86
	v_lshrrev_b32_e32 v79, 22, v79
	v_xor3_b32 v4, v4, v80, v16
	s_delay_alu instid0(VALU_DEP_3) | instskip(NEXT) | instid1(VALU_DEP_4)
	v_and_b32_e32 v87, 0x3fc, v87
	v_and_b32_e32 v86, 0x3fc, v86
	global_load_b32 v86, v86, s[2:3]
	global_load_b32 v87, v87, s[16:17]
	v_and_b32_e32 v79, 0x3fc, v79
	s_wait_loadcnt 0x0
	v_perm_b32 v86, v86, v87, 0x7020c0c
	v_dual_lshrrev_b32 v87, 6, v82 :: v_dual_lshrrev_b32 v82, 14, v82
	s_delay_alu instid0(VALU_DEP_1) | instskip(NEXT) | instid1(VALU_DEP_2)
	v_and_b32_e32 v87, 0x3fc, v87
	v_and_b32_e32 v82, 0x3fc, v82
	global_load_b32 v84, v84, s[12:13] scale_offset
	global_load_b32 v87, v87, s[14:15]
	global_load_b32 v79, v79, s[2:3]
	;; [unrolled: 1-line block ×3, first 2 shown]
	s_wait_loadcnt 0x3
	s_wait_xcnt 0x3
	v_and_b32_e32 v84, 0xff, v84
	s_wait_loadcnt 0x2
	s_wait_xcnt 0x2
	v_and_b32_e32 v87, 0xff00, v87
	s_wait_loadcnt 0x0
	v_perm_b32 v79, v79, v82, 0x7020c0c
	v_lshrrev_b32_e32 v82, 6, v85
	s_delay_alu instid0(VALU_DEP_3) | instskip(NEXT) | instid1(VALU_DEP_2)
	v_or3_b32 v84, v86, v87, v84
	v_and_b32_e32 v82, 0x3fc, v82
	global_load_b32 v81, v81, s[12:13] scale_offset
	global_load_b32 v82, v82, s[14:15]
	v_xor3_b32 v6, v67, v6, v84
	v_xor3_b32 v67, v7, v68, v73
	s_delay_alu instid0(VALU_DEP_2)
	v_xor3_b32 v6, v6, v21, v73
	s_wait_loadcnt 0x1
	s_wait_xcnt 0x1
	v_and_b32_e32 v81, 0xff, v81
	s_wait_loadcnt 0x0
	v_and_b32_e32 v82, 0xff00, v82
	s_delay_alu instid0(VALU_DEP_1) | instskip(NEXT) | instid1(VALU_DEP_1)
	v_or3_b32 v79, v79, v82, v81
	v_xor3_b32 v3, v67, v3, v79
	v_xor_b32_e32 v67, v4, v73
	v_bitop3_b32 v4, v4, 0xff, v73 bitop3:0x48
	s_delay_alu instid0(VALU_DEP_3) | instskip(NEXT) | instid1(VALU_DEP_3)
	v_xor3_b32 v3, v3, v7, v73
	v_lshrrev_b32_e32 v68, 14, v67
	s_delay_alu instid0(VALU_DEP_2) | instskip(NEXT) | instid1(VALU_DEP_2)
	v_bitop3_b32 v80, v3, 0xff, v18 bitop3:0x48
	v_and_b32_e32 v68, 0x3fc, v68
	global_load_b32 v66, v66, s[14:15]
	global_load_b32 v68, v68, s[12:13]
	s_wait_loadcnt 0x0
	v_xor_b32_e32 v66, v66, v68
	v_xor_b32_e32 v68, v6, v19
	;; [unrolled: 1-line block ×3, first 2 shown]
	v_bitop3_b32 v6, v6, 0xff, v19 bitop3:0x48
	s_delay_alu instid0(VALU_DEP_3) | instskip(NEXT) | instid1(VALU_DEP_1)
	v_lshrrev_b32_e32 v79, 6, v68
	v_and_b32_e32 v79, 0x3fc, v79
	global_load_b32 v80, v80, s[16:17] scale_offset
	global_load_b32 v79, v79, s[2:3]
	s_wait_loadcnt 0x0
	v_xor3_b32 v66, v66, v79, v80
	v_dual_lshrrev_b32 v80, 14, v68 :: v_dual_lshrrev_b32 v79, 22, v67
	v_lshrrev_b32_e32 v68, 22, v68
	s_delay_alu instid0(VALU_DEP_2) | instskip(NEXT) | instid1(VALU_DEP_3)
	v_and_b32_e32 v80, 0x3fc, v80
	v_and_b32_e32 v79, 0x3fc, v79
	s_delay_alu instid0(VALU_DEP_3) | instskip(SKIP_4) | instid1(VALU_DEP_1)
	v_and_b32_e32 v68, 0x3fc, v68
	global_load_b32 v79, v79, s[14:15]
	global_load_b32 v80, v80, s[12:13]
	s_wait_loadcnt 0x0
	v_dual_lshrrev_b32 v80, 6, v3 :: v_dual_bitop2_b32 v79, v79, v80 bitop3:0x14
	v_and_b32_e32 v80, 0x3fc, v80
	global_load_b32 v5, v5, s[16:17] scale_offset
	global_load_b32 v80, v80, s[2:3]
	s_wait_loadcnt 0x0
	v_xor3_b32 v5, v79, v80, v5
	v_dual_lshrrev_b32 v79, 14, v3 :: v_dual_lshrrev_b32 v3, 22, v3
	s_delay_alu instid0(VALU_DEP_1) | instskip(NEXT) | instid1(VALU_DEP_2)
	v_and_b32_e32 v79, 0x3fc, v79
	v_and_b32_e32 v3, 0x3fc, v3
	global_load_b32 v68, v68, s[14:15]
	global_load_b32 v79, v79, s[12:13]
	s_wait_loadcnt 0x0
	v_dual_lshrrev_b32 v79, 6, v65 :: v_dual_bitop2_b32 v68, v68, v79 bitop3:0x14
	v_lshrrev_b32_e32 v65, 14, v65
	s_delay_alu instid0(VALU_DEP_2) | instskip(NEXT) | instid1(VALU_DEP_2)
	v_and_b32_e32 v79, 0x3fc, v79
	v_and_b32_e32 v65, 0x3fc, v65
	global_load_b32 v4, v4, s[16:17] scale_offset
	global_load_b32 v79, v79, s[2:3]
	global_load_b32 v65, v65, s[12:13]
	;; [unrolled: 1-line block ×3, first 2 shown]
	s_wait_loadcnt 0x0
	v_dual_lshrrev_b32 v65, 6, v67 :: v_dual_bitop2_b32 v3, v3, v65 bitop3:0x14
	v_xor_b32_e32 v67, v5, v13
	v_bitop3_b32 v5, v5, 0xff, v13 bitop3:0x48
	s_delay_alu instid0(VALU_DEP_3)
	v_and_b32_e32 v65, 0x3fc, v65
	global_load_b32 v6, v6, s[16:17] scale_offset
	global_load_b32 v65, v65, s[2:3]
	s_wait_loadcnt 0x0
	v_xor3_b32 v3, v3, v65, v6
	v_xor_b32_e32 v6, v66, v15
	v_bitop3_b32 v66, v66, 0xff, v15 bitop3:0x48
	s_delay_alu instid0(VALU_DEP_3) | instskip(NEXT) | instid1(VALU_DEP_3)
	v_bitop3_b32 v80, v3, 0xff, v12 bitop3:0x48
	v_lshrrev_b32_e32 v65, 22, v6
	v_xor3_b32 v4, v68, v79, v4
	v_dual_lshrrev_b32 v68, 14, v67 :: v_dual_bitop2_b32 v3, v3, v12 bitop3:0x14
	s_delay_alu instid0(VALU_DEP_3) | instskip(NEXT) | instid1(VALU_DEP_2)
	v_and_b32_e32 v65, 0x3fc, v65
	v_and_b32_e32 v68, 0x3fc, v68
	global_load_b32 v65, v65, s[14:15]
	global_load_b32 v68, v68, s[12:13]
	s_wait_loadcnt 0x0
	v_xor_b32_e32 v65, v65, v68
	v_xor_b32_e32 v68, v4, v14
	v_bitop3_b32 v4, v4, 0xff, v14 bitop3:0x48
	s_delay_alu instid0(VALU_DEP_2) | instskip(NEXT) | instid1(VALU_DEP_1)
	v_lshrrev_b32_e32 v79, 6, v68
	v_and_b32_e32 v79, 0x3fc, v79
	global_load_b32 v80, v80, s[16:17] scale_offset
	global_load_b32 v79, v79, s[2:3]
	s_wait_loadcnt 0x0
	v_xor3_b32 v65, v65, v79, v80
	v_dual_lshrrev_b32 v79, 22, v67 :: v_dual_lshrrev_b32 v80, 14, v68
	s_delay_alu instid0(VALU_DEP_1) | instskip(NEXT) | instid1(VALU_DEP_2)
	v_and_b32_e32 v79, 0x3fc, v79
	v_and_b32_e32 v80, 0x3fc, v80
	global_load_b32 v79, v79, s[14:15]
	global_load_b32 v80, v80, s[12:13]
	s_wait_loadcnt 0x0
	v_dual_lshrrev_b32 v80, 6, v3 :: v_dual_bitop2_b32 v79, v79, v80 bitop3:0x14
	v_lshrrev_b32_e32 v68, 22, v68
	s_delay_alu instid0(VALU_DEP_2)
	v_and_b32_e32 v80, 0x3fc, v80
	global_load_b32 v66, v66, s[16:17] scale_offset
	global_load_b32 v80, v80, s[2:3]
	s_wait_loadcnt 0x0
	v_xor3_b32 v66, v79, v80, v66
	v_lshrrev_b32_e32 v79, 14, v3
	v_and_b32_e32 v68, 0x3fc, v68
	s_delay_alu instid0(VALU_DEP_2)
	v_and_b32_e32 v79, 0x3fc, v79
	global_load_b32 v68, v68, s[14:15]
	global_load_b32 v79, v79, s[12:13]
	s_wait_loadcnt 0x0
	v_dual_lshrrev_b32 v79, 6, v6 :: v_dual_bitop2_b32 v68, v68, v79 bitop3:0x14
	v_dual_lshrrev_b32 v6, 14, v6 :: v_dual_lshrrev_b32 v3, 22, v3
	s_delay_alu instid0(VALU_DEP_2) | instskip(NEXT) | instid1(VALU_DEP_2)
	v_and_b32_e32 v79, 0x3fc, v79
	v_and_b32_e32 v6, 0x3fc, v6
	s_delay_alu instid0(VALU_DEP_3)
	v_and_b32_e32 v3, 0x3fc, v3
	global_load_b32 v5, v5, s[16:17] scale_offset
	global_load_b32 v79, v79, s[2:3]
	global_load_b32 v6, v6, s[12:13]
	;; [unrolled: 1-line block ×3, first 2 shown]
	s_wait_loadcnt 0x0
	v_dual_lshrrev_b32 v6, 6, v67 :: v_dual_bitop2_b32 v3, v3, v6 bitop3:0x14
	v_xor_b32_e32 v67, v66, v10
	v_bitop3_b32 v66, v66, 0xff, v10 bitop3:0x48
	s_delay_alu instid0(VALU_DEP_3)
	v_and_b32_e32 v6, 0x3fc, v6
	global_load_b32 v4, v4, s[16:17] scale_offset
	global_load_b32 v6, v6, s[2:3]
	s_wait_loadcnt 0x0
	v_xor3_b32 v3, v3, v6, v4
	v_xor_b32_e32 v4, v65, v22
	v_bitop3_b32 v65, v65, 0xff, v22 bitop3:0x48
	s_delay_alu instid0(VALU_DEP_3) | instskip(NEXT) | instid1(VALU_DEP_3)
	v_bitop3_b32 v80, v3, 0xff, v24 bitop3:0x48
	v_lshrrev_b32_e32 v6, 22, v4
	v_xor3_b32 v5, v68, v79, v5
	v_dual_lshrrev_b32 v68, 14, v67 :: v_dual_bitop2_b32 v3, v3, v24 bitop3:0x14
	s_delay_alu instid0(VALU_DEP_3) | instskip(NEXT) | instid1(VALU_DEP_2)
	v_and_b32_e32 v6, 0x3fc, v6
	v_and_b32_e32 v68, 0x3fc, v68
	global_load_b32 v6, v6, s[14:15]
	global_load_b32 v68, v68, s[12:13]
	s_wait_loadcnt 0x0
	v_xor_b32_e32 v6, v6, v68
	v_xor_b32_e32 v68, v5, v20
	v_bitop3_b32 v5, v5, 0xff, v20 bitop3:0x48
	s_delay_alu instid0(VALU_DEP_2) | instskip(NEXT) | instid1(VALU_DEP_1)
	v_lshrrev_b32_e32 v79, 6, v68
	v_and_b32_e32 v79, 0x3fc, v79
	global_load_b32 v80, v80, s[16:17] scale_offset
	global_load_b32 v79, v79, s[2:3]
	s_wait_loadcnt 0x0
	v_xor3_b32 v6, v6, v79, v80
	v_dual_lshrrev_b32 v79, 22, v67 :: v_dual_lshrrev_b32 v80, 14, v68
	s_delay_alu instid0(VALU_DEP_1) | instskip(NEXT) | instid1(VALU_DEP_2)
	v_and_b32_e32 v79, 0x3fc, v79
	v_and_b32_e32 v80, 0x3fc, v80
	global_load_b32 v79, v79, s[14:15]
	global_load_b32 v80, v80, s[12:13]
	s_wait_loadcnt 0x0
	v_dual_lshrrev_b32 v80, 6, v3 :: v_dual_bitop2_b32 v79, v79, v80 bitop3:0x14
	v_lshrrev_b32_e32 v68, 22, v68
	s_delay_alu instid0(VALU_DEP_2)
	v_and_b32_e32 v80, 0x3fc, v80
	global_load_b32 v65, v65, s[16:17] scale_offset
	global_load_b32 v80, v80, s[2:3]
	s_wait_loadcnt 0x0
	v_xor3_b32 v65, v79, v80, v65
	v_lshrrev_b32_e32 v79, 14, v3
	v_and_b32_e32 v68, 0x3fc, v68
	v_lshrrev_b32_e32 v3, 22, v3
	s_delay_alu instid0(VALU_DEP_3)
	v_and_b32_e32 v79, 0x3fc, v79
	global_load_b32 v68, v68, s[14:15]
	global_load_b32 v79, v79, s[12:13]
	v_and_b32_e32 v3, 0x3fc, v3
	s_wait_loadcnt 0x0
	v_dual_lshrrev_b32 v79, 6, v4 :: v_dual_bitop2_b32 v68, v68, v79 bitop3:0x14
	v_lshrrev_b32_e32 v4, 14, v4
	s_delay_alu instid0(VALU_DEP_2) | instskip(NEXT) | instid1(VALU_DEP_2)
	v_and_b32_e32 v79, 0x3fc, v79
	v_and_b32_e32 v4, 0x3fc, v4
	global_load_b32 v66, v66, s[16:17] scale_offset
	global_load_b32 v79, v79, s[2:3]
	global_load_b32 v3, v3, s[14:15]
	;; [unrolled: 1-line block ×3, first 2 shown]
	s_wait_loadcnt 0x2
	s_wait_xcnt 0x3
	v_xor3_b32 v66, v68, v79, v66
	s_wait_loadcnt 0x0
	v_dual_lshrrev_b32 v4, 6, v67 :: v_dual_bitop2_b32 v3, v3, v4 bitop3:0x14
	v_xor_b32_e32 v67, v65, v33
	v_bitop3_b32 v65, v65, 0xff, v33 bitop3:0x48
	s_delay_alu instid0(VALU_DEP_3) | instskip(SKIP_3) | instid1(VALU_DEP_1)
	v_and_b32_e32 v4, 0x3fc, v4
	global_load_b32 v5, v5, s[16:17] scale_offset
	global_load_b32 v4, v4, s[2:3]
	v_lshrrev_b32_e32 v68, 14, v67
	v_and_b32_e32 v68, 0x3fc, v68
	s_wait_loadcnt 0x0
	v_xor3_b32 v3, v3, v4, v5
	v_xor_b32_e32 v4, v6, v26
	v_bitop3_b32 v6, v6, 0xff, v26 bitop3:0x48
	s_delay_alu instid0(VALU_DEP_3) | instskip(NEXT) | instid1(VALU_DEP_3)
	v_bitop3_b32 v80, v3, 0xff, v34 bitop3:0x48
	v_dual_lshrrev_b32 v5, 22, v4 :: v_dual_bitop2_b32 v3, v3, v34 bitop3:0x14
	s_delay_alu instid0(VALU_DEP_1)
	v_and_b32_e32 v5, 0x3fc, v5
	global_load_b32 v5, v5, s[14:15]
	global_load_b32 v68, v68, s[12:13]
	s_wait_loadcnt 0x0
	v_xor_b32_e32 v5, v5, v68
	v_xor_b32_e32 v68, v66, v9
	v_bitop3_b32 v66, v66, 0xff, v9 bitop3:0x48
	s_delay_alu instid0(VALU_DEP_2) | instskip(NEXT) | instid1(VALU_DEP_1)
	v_lshrrev_b32_e32 v79, 6, v68
	v_and_b32_e32 v79, 0x3fc, v79
	global_load_b32 v80, v80, s[16:17] scale_offset
	global_load_b32 v79, v79, s[2:3]
	s_wait_loadcnt 0x0
	v_xor3_b32 v5, v5, v79, v80
	v_dual_lshrrev_b32 v79, 22, v67 :: v_dual_lshrrev_b32 v80, 14, v68
	v_lshrrev_b32_e32 v68, 22, v68
	s_delay_alu instid0(VALU_DEP_2) | instskip(NEXT) | instid1(VALU_DEP_3)
	v_and_b32_e32 v79, 0x3fc, v79
	v_and_b32_e32 v80, 0x3fc, v80
	global_load_b32 v79, v79, s[14:15]
	global_load_b32 v80, v80, s[12:13]
	s_wait_loadcnt 0x0
	v_dual_lshrrev_b32 v80, 6, v3 :: v_dual_bitop2_b32 v79, v79, v80 bitop3:0x14
	s_delay_alu instid0(VALU_DEP_1)
	v_and_b32_e32 v80, 0x3fc, v80
	global_load_b32 v6, v6, s[16:17] scale_offset
	global_load_b32 v80, v80, s[2:3]
	s_wait_loadcnt 0x0
	v_xor3_b32 v6, v79, v80, v6
	v_lshrrev_b32_e32 v79, 14, v3
	v_and_b32_e32 v68, 0x3fc, v68
	v_lshrrev_b32_e32 v3, 22, v3
	s_delay_alu instid0(VALU_DEP_3)
	v_and_b32_e32 v79, 0x3fc, v79
	global_load_b32 v68, v68, s[14:15]
	global_load_b32 v79, v79, s[12:13]
	s_wait_loadcnt 0x0
	v_dual_lshrrev_b32 v79, 6, v4 :: v_dual_bitop2_b32 v68, v68, v79 bitop3:0x14
	v_lshrrev_b32_e32 v4, 14, v4
	v_and_b32_e32 v3, 0x3fc, v3
	s_delay_alu instid0(VALU_DEP_3) | instskip(NEXT) | instid1(VALU_DEP_3)
	v_and_b32_e32 v79, 0x3fc, v79
	v_and_b32_e32 v4, 0x3fc, v4
	global_load_b32 v65, v65, s[16:17] scale_offset
	global_load_b32 v79, v79, s[2:3]
	global_load_b32 v3, v3, s[14:15]
	;; [unrolled: 1-line block ×3, first 2 shown]
	s_wait_loadcnt 0x2
	s_wait_xcnt 0x3
	v_xor3_b32 v65, v68, v79, v65
	s_wait_loadcnt 0x0
	v_dual_lshrrev_b32 v4, 6, v67 :: v_dual_bitop2_b32 v3, v3, v4 bitop3:0x14
	v_xor_b32_e32 v79, v5, v31
	v_bitop3_b32 v5, v5, 0xff, v31 bitop3:0x48
	s_delay_alu instid0(VALU_DEP_3) | instskip(SKIP_3) | instid1(VALU_DEP_1)
	v_and_b32_e32 v4, 0x3fc, v4
	global_load_b32 v66, v66, s[16:17] scale_offset
	global_load_b32 v4, v4, s[2:3]
	v_lshrrev_b32_e32 v80, 6, v79
	v_and_b32_e32 v80, 0x3fc, v80
	s_wait_loadcnt 0x0
	v_xor3_b32 v3, v3, v4, v66
	s_delay_alu instid0(VALU_DEP_1) | instskip(SKIP_3) | instid1(VALU_DEP_3)
	v_xor_b32_e32 v67, v3, v32
	v_xor_b32_e32 v4, v65, v8
	v_bitop3_b32 v3, v3, 0xff, v32 bitop3:0x48
	v_bitop3_b32 v65, v65, 0xff, v8 bitop3:0x48
	v_dual_lshrrev_b32 v68, 14, v67 :: v_dual_lshrrev_b32 v66, 22, v4
	s_delay_alu instid0(VALU_DEP_1) | instskip(NEXT) | instid1(VALU_DEP_2)
	v_and_b32_e32 v68, 0x3fc, v68
	v_and_b32_e32 v66, 0x3fc, v66
	global_load_b32 v66, v66, s[14:15]
	global_load_b32 v68, v68, s[12:13]
	;; [unrolled: 1-line block ×3, first 2 shown]
	s_wait_loadcnt 0x0
	v_xor3_b32 v66, v66, v68, v80
	v_xor_b32_e32 v80, v6, v47
	v_lshrrev_b32_e32 v68, 22, v79
	v_bitop3_b32 v6, v6, 0xff, v47 bitop3:0x48
	s_delay_alu instid0(VALU_DEP_3) | instskip(NEXT) | instid1(VALU_DEP_3)
	v_lshrrev_b32_e32 v81, 14, v80
	v_and_b32_e32 v68, 0x3fc, v68
	s_delay_alu instid0(VALU_DEP_2)
	v_and_b32_e32 v81, 0x3fc, v81
	global_load_b32 v68, v68, s[14:15]
	global_load_b32 v81, v81, s[12:13]
	s_wait_loadcnt 0x0
	v_dual_lshrrev_b32 v81, 6, v4 :: v_dual_bitop2_b32 v68, v68, v81 bitop3:0x14
	v_lshrrev_b32_e32 v4, 14, v4
	s_delay_alu instid0(VALU_DEP_2) | instskip(NEXT) | instid1(VALU_DEP_2)
	v_and_b32_e32 v81, 0x3fc, v81
	v_and_b32_e32 v4, 0x3fc, v4
	global_load_b32 v3, v3, s[16:17] scale_offset
	global_load_b32 v81, v81, s[2:3]
	s_wait_loadcnt 0x0
	v_xor3_b32 v3, v68, v81, v3
	v_lshrrev_b32_e32 v68, 22, v80
	s_delay_alu instid0(VALU_DEP_1) | instskip(SKIP_4) | instid1(VALU_DEP_1)
	v_and_b32_e32 v68, 0x3fc, v68
	global_load_b32 v68, v68, s[14:15]
	global_load_b32 v4, v4, s[12:13]
	s_wait_loadcnt 0x0
	v_dual_lshrrev_b32 v68, 6, v67 :: v_dual_bitop2_b32 v4, v68, v4 bitop3:0x14
	v_and_b32_e32 v68, 0x3fc, v68
	global_load_b32 v5, v5, s[16:17] scale_offset
	global_load_b32 v68, v68, s[2:3]
	s_wait_loadcnt 0x0
	v_xor3_b32 v4, v4, v68, v5
	v_lshrrev_b32_e32 v5, 22, v67
	v_dual_lshrrev_b32 v67, 14, v79 :: v_dual_bitop2_b32 v79, v3, v49 bitop3:0x14
	v_bitop3_b32 v3, v3, 0xff, v49 bitop3:0x48
	s_delay_alu instid0(VALU_DEP_3) | instskip(NEXT) | instid1(VALU_DEP_3)
	v_and_b32_e32 v5, 0x3fc, v5
	v_and_b32_e32 v67, 0x3fc, v67
	global_load_b32 v5, v5, s[14:15]
	global_load_b32 v67, v67, s[12:13]
	s_wait_loadcnt 0x0
	v_dual_lshrrev_b32 v67, 6, v80 :: v_dual_bitop2_b32 v5, v5, v67 bitop3:0x14
	v_lshrrev_b32_e32 v80, 6, v79
	s_delay_alu instid0(VALU_DEP_2)
	v_and_b32_e32 v67, 0x3fc, v67
	global_load_b32 v65, v65, s[16:17] scale_offset
	global_load_b32 v67, v67, s[2:3]
	global_load_b32 v6, v6, s[16:17] scale_offset
	v_and_b32_e32 v80, 0x3fc, v80
	s_wait_loadcnt 0x1
	v_xor3_b32 v5, v5, v67, v65
	s_wait_loadcnt 0x0
	v_xor3_b32 v6, v66, v6, v9
	s_delay_alu instid0(VALU_DEP_2) | instskip(NEXT) | instid1(VALU_DEP_2)
	v_xor_b32_e32 v67, v5, v46
	v_xor_b32_e32 v65, v6, v25
	v_bitop3_b32 v5, v5, 0xff, v46 bitop3:0x48
	v_bitop3_b32 v6, v6, 0xff, v25 bitop3:0x48
	s_delay_alu instid0(VALU_DEP_3) | instskip(NEXT) | instid1(VALU_DEP_1)
	v_dual_lshrrev_b32 v68, 14, v67 :: v_dual_lshrrev_b32 v66, 22, v65
	v_and_b32_e32 v68, 0x3fc, v68
	s_delay_alu instid0(VALU_DEP_2)
	v_and_b32_e32 v66, 0x3fc, v66
	global_load_b32 v66, v66, s[14:15]
	global_load_b32 v68, v68, s[12:13]
	;; [unrolled: 1-line block ×3, first 2 shown]
	s_wait_loadcnt 0x0
	v_xor3_b32 v66, v66, v68, v80
	v_dual_lshrrev_b32 v68, 22, v79 :: v_dual_bitop2_b32 v80, v4, v25 bitop3:0x14
	v_bitop3_b32 v4, v4, 0xff, v25 bitop3:0x48
	s_delay_alu instid0(VALU_DEP_2) | instskip(NEXT) | instid1(VALU_DEP_3)
	v_lshrrev_b32_e32 v81, 14, v80
	v_and_b32_e32 v68, 0x3fc, v68
	s_delay_alu instid0(VALU_DEP_2)
	v_and_b32_e32 v81, 0x3fc, v81
	global_load_b32 v68, v68, s[14:15]
	global_load_b32 v81, v81, s[12:13]
	s_wait_loadcnt 0x0
	v_xor_b32_e32 v68, v68, v81
	v_dual_lshrrev_b32 v81, 6, v65 :: v_dual_lshrrev_b32 v65, 14, v65
	s_delay_alu instid0(VALU_DEP_1) | instskip(NEXT) | instid1(VALU_DEP_2)
	v_and_b32_e32 v81, 0x3fc, v81
	v_and_b32_e32 v65, 0x3fc, v65
	global_load_b32 v5, v5, s[16:17] scale_offset
	global_load_b32 v81, v81, s[2:3]
	s_wait_loadcnt 0x0
	v_xor3_b32 v5, v68, v81, v5
	v_lshrrev_b32_e32 v68, 22, v80
	s_delay_alu instid0(VALU_DEP_1) | instskip(SKIP_4) | instid1(VALU_DEP_1)
	v_and_b32_e32 v68, 0x3fc, v68
	global_load_b32 v68, v68, s[14:15]
	global_load_b32 v65, v65, s[12:13]
	s_wait_loadcnt 0x0
	v_dual_lshrrev_b32 v68, 6, v67 :: v_dual_bitop2_b32 v65, v68, v65 bitop3:0x14
	v_and_b32_e32 v68, 0x3fc, v68
	global_load_b32 v3, v3, s[16:17] scale_offset
	global_load_b32 v68, v68, s[2:3]
	s_wait_loadcnt 0x0
	v_xor3_b32 v3, v65, v68, v3
	v_lshrrev_b32_e32 v65, 22, v67
	v_lshrrev_b32_e32 v67, 14, v79
	s_delay_alu instid0(VALU_DEP_2) | instskip(NEXT) | instid1(VALU_DEP_2)
	v_and_b32_e32 v65, 0x3fc, v65
	v_and_b32_e32 v67, 0x3fc, v67
	global_load_b32 v65, v65, s[14:15]
	global_load_b32 v67, v67, s[12:13]
	s_wait_loadcnt 0x0
	v_dual_lshrrev_b32 v67, 6, v80 :: v_dual_bitop2_b32 v65, v65, v67 bitop3:0x14
	s_delay_alu instid0(VALU_DEP_1)
	v_and_b32_e32 v67, 0x3fc, v67
	global_load_b32 v6, v6, s[16:17] scale_offset
	global_load_b32 v67, v67, s[2:3]
	global_load_b32 v4, v4, s[16:17] scale_offset
	s_wait_loadcnt 0x1
	s_wait_xcnt 0x2
	v_xor3_b32 v6, v65, v67, v6
	s_wait_loadcnt 0x0
	v_xor3_b32 v4, v66, v4, v8
	v_xor_b32_e32 v65, v3, v35
	v_bitop3_b32 v3, v3, 0xff, v35 bitop3:0x48
	v_xor_b32_e32 v79, v6, v38
	s_delay_alu instid0(VALU_DEP_3) | instskip(SKIP_2) | instid1(VALU_DEP_4)
	v_dual_lshrrev_b32 v66, 22, v65 :: v_dual_bitop2_b32 v67, v4, v35 bitop3:0x14
	v_bitop3_b32 v6, v6, 0xff, v38 bitop3:0x48
	v_bitop3_b32 v4, v4, 0xff, v35 bitop3:0x48
	v_lshrrev_b32_e32 v80, 6, v79
	s_delay_alu instid0(VALU_DEP_4) | instskip(SKIP_1) | instid1(VALU_DEP_3)
	v_lshrrev_b32_e32 v68, 14, v67
	v_and_b32_e32 v66, 0x3fc, v66
	v_and_b32_e32 v80, 0x3fc, v80
	s_delay_alu instid0(VALU_DEP_3)
	v_and_b32_e32 v68, 0x3fc, v68
	global_load_b32 v66, v66, s[14:15]
	global_load_b32 v68, v68, s[12:13]
	;; [unrolled: 1-line block ×3, first 2 shown]
	s_wait_loadcnt 0x0
	v_xor3_b32 v66, v66, v68, v80
	v_xor_b32_e32 v68, v5, v36
	v_bitop3_b32 v5, v5, 0xff, v36 bitop3:0x48
	s_delay_alu instid0(VALU_DEP_2) | instskip(SKIP_1) | instid1(VALU_DEP_2)
	v_dual_lshrrev_b32 v80, 22, v68 :: v_dual_lshrrev_b32 v81, 14, v65
	v_lshrrev_b32_e32 v65, 6, v65
	v_and_b32_e32 v80, 0x3fc, v80
	s_delay_alu instid0(VALU_DEP_3)
	v_and_b32_e32 v81, 0x3fc, v81
	global_load_b32 v80, v80, s[14:15]
	global_load_b32 v81, v81, s[12:13]
	v_and_b32_e32 v65, 0x3fc, v65
	s_wait_loadcnt 0x0
	v_dual_lshrrev_b32 v81, 6, v67 :: v_dual_bitop2_b32 v80, v80, v81 bitop3:0x14
	v_lshrrev_b32_e32 v67, 22, v67
	s_delay_alu instid0(VALU_DEP_2)
	v_and_b32_e32 v81, 0x3fc, v81
	global_load_b32 v6, v6, s[16:17] scale_offset
	global_load_b32 v81, v81, s[2:3]
	v_and_b32_e32 v67, 0x3fc, v67
	s_wait_loadcnt 0x0
	v_xor3_b32 v6, v80, v81, v6
	v_lshrrev_b32_e32 v80, 14, v79
	s_delay_alu instid0(VALU_DEP_1)
	v_and_b32_e32 v80, 0x3fc, v80
	global_load_b32 v67, v67, s[14:15]
	global_load_b32 v80, v80, s[12:13]
	s_wait_loadcnt 0x0
	v_xor_b32_e32 v67, v67, v80
	v_dual_lshrrev_b32 v80, 6, v68 :: v_dual_lshrrev_b32 v68, 14, v68
	s_delay_alu instid0(VALU_DEP_1) | instskip(NEXT) | instid1(VALU_DEP_2)
	v_and_b32_e32 v80, 0x3fc, v80
	v_and_b32_e32 v68, 0x3fc, v68
	global_load_b32 v3, v3, s[16:17] scale_offset
	global_load_b32 v80, v80, s[2:3]
	s_wait_loadcnt 0x0
	v_xor3_b32 v3, v67, v80, v3
	v_lshrrev_b32_e32 v67, 22, v79
	s_delay_alu instid0(VALU_DEP_1)
	v_and_b32_e32 v67, 0x3fc, v67
	global_load_b32 v67, v67, s[14:15]
	global_load_b32 v68, v68, s[12:13]
	global_load_b32 v4, v4, s[16:17] scale_offset
	global_load_b32 v65, v65, s[2:3]
	global_load_b32 v5, v5, s[16:17] scale_offset
	s_wait_loadcnt 0x3
	s_wait_xcnt 0x4
	v_xor_b32_e32 v67, v67, v68
	s_wait_loadcnt 0x0
	v_xor3_b32 v5, v66, v5, v25
	s_delay_alu instid0(VALU_DEP_2) | instskip(NEXT) | instid1(VALU_DEP_2)
	v_xor3_b32 v4, v67, v65, v4
	v_xor_b32_e32 v67, v5, v50
	v_xor_b32_e32 v65, v6, v50
	v_bitop3_b32 v6, v6, 0xff, v50 bitop3:0x48
	v_bitop3_b32 v5, v5, 0xff, v50 bitop3:0x48
	;; [unrolled: 1-line block ×3, first 2 shown]
	s_delay_alu instid0(VALU_DEP_4) | instskip(SKIP_1) | instid1(VALU_DEP_2)
	v_dual_lshrrev_b32 v68, 14, v67 :: v_dual_lshrrev_b32 v66, 22, v65
	v_xor_b32_e32 v4, v4, v54
	v_and_b32_e32 v68, 0x3fc, v68
	s_delay_alu instid0(VALU_DEP_3)
	v_and_b32_e32 v66, 0x3fc, v66
	global_load_b32 v66, v66, s[14:15]
	global_load_b32 v68, v68, s[12:13]
	s_wait_loadcnt 0x0
	v_xor_b32_e32 v66, v66, v68
	v_xor_b32_e32 v68, v3, v27
	v_bitop3_b32 v3, v3, 0xff, v27 bitop3:0x48
	s_delay_alu instid0(VALU_DEP_2) | instskip(NEXT) | instid1(VALU_DEP_1)
	v_lshrrev_b32_e32 v79, 6, v68
	v_and_b32_e32 v79, 0x3fc, v79
	global_load_b32 v80, v80, s[16:17] scale_offset
	global_load_b32 v79, v79, s[2:3]
	s_wait_loadcnt 0x0
	v_xor3_b32 v66, v66, v79, v80
	v_dual_lshrrev_b32 v79, 22, v67 :: v_dual_lshrrev_b32 v80, 14, v68
	s_delay_alu instid0(VALU_DEP_1) | instskip(NEXT) | instid1(VALU_DEP_2)
	v_and_b32_e32 v79, 0x3fc, v79
	v_and_b32_e32 v80, 0x3fc, v80
	global_load_b32 v79, v79, s[14:15]
	global_load_b32 v80, v80, s[12:13]
	s_wait_loadcnt 0x0
	v_xor_b32_e32 v79, v79, v80
	v_lshrrev_b32_e32 v80, 6, v4
	v_lshrrev_b32_e32 v68, 22, v68
	s_delay_alu instid0(VALU_DEP_2) | instskip(NEXT) | instid1(VALU_DEP_2)
	v_and_b32_e32 v80, 0x3fc, v80
	v_and_b32_e32 v68, 0x3fc, v68
	global_load_b32 v6, v6, s[16:17] scale_offset
	global_load_b32 v80, v80, s[2:3]
	s_wait_loadcnt 0x0
	v_xor3_b32 v6, v79, v80, v6
	v_lshrrev_b32_e32 v79, 14, v4
	s_delay_alu instid0(VALU_DEP_1)
	v_and_b32_e32 v79, 0x3fc, v79
	global_load_b32 v68, v68, s[14:15]
	global_load_b32 v79, v79, s[12:13]
	s_wait_loadcnt 0x0
	v_dual_lshrrev_b32 v79, 6, v65 :: v_dual_bitop2_b32 v68, v68, v79 bitop3:0x14
	v_dual_lshrrev_b32 v4, 22, v4 :: v_dual_lshrrev_b32 v65, 14, v65
	s_delay_alu instid0(VALU_DEP_2) | instskip(NEXT) | instid1(VALU_DEP_2)
	v_and_b32_e32 v79, 0x3fc, v79
	v_and_b32_e32 v4, 0x3fc, v4
	s_delay_alu instid0(VALU_DEP_3)
	v_and_b32_e32 v65, 0x3fc, v65
	global_load_b32 v5, v5, s[16:17] scale_offset
	global_load_b32 v79, v79, s[2:3]
	global_load_b32 v4, v4, s[14:15]
	;; [unrolled: 1-line block ×3, first 2 shown]
	s_wait_loadcnt 0x2
	s_wait_xcnt 0x3
	v_xor3_b32 v5, v68, v79, v5
	v_xor_b32_e32 v79, v66, v40
	v_bitop3_b32 v66, v66, 0xff, v40 bitop3:0x48
	s_wait_loadcnt 0x0
	v_dual_lshrrev_b32 v65, 6, v67 :: v_dual_bitop2_b32 v4, v4, v65 bitop3:0x14
	s_delay_alu instid0(VALU_DEP_3) | instskip(NEXT) | instid1(VALU_DEP_2)
	v_lshrrev_b32_e32 v80, 6, v79
	v_and_b32_e32 v65, 0x3fc, v65
	global_load_b32 v3, v3, s[16:17] scale_offset
	global_load_b32 v65, v65, s[2:3]
	v_and_b32_e32 v80, 0x3fc, v80
	s_wait_loadcnt 0x0
	v_xor3_b32 v3, v4, v65, v3
	v_xor_b32_e32 v4, v5, v23
	v_bitop3_b32 v5, v5, 0xff, v23 bitop3:0x48
	s_delay_alu instid0(VALU_DEP_2) | instskip(SKIP_1) | instid1(VALU_DEP_2)
	v_dual_lshrrev_b32 v65, 22, v4 :: v_dual_bitop2_b32 v67, v3, v42 bitop3:0x14
	v_bitop3_b32 v3, v3, 0xff, v42 bitop3:0x48
	v_lshrrev_b32_e32 v68, 14, v67
	s_delay_alu instid0(VALU_DEP_3) | instskip(NEXT) | instid1(VALU_DEP_2)
	v_and_b32_e32 v65, 0x3fc, v65
	v_and_b32_e32 v68, 0x3fc, v68
	global_load_b32 v65, v65, s[14:15]
	global_load_b32 v68, v68, s[12:13]
	;; [unrolled: 1-line block ×3, first 2 shown]
	s_wait_loadcnt 0x0
	v_xor3_b32 v65, v65, v68, v80
	v_xor_b32_e32 v80, v6, v55
	v_bitop3_b32 v6, v6, 0xff, v55 bitop3:0x48
	s_delay_alu instid0(VALU_DEP_2) | instskip(NEXT) | instid1(VALU_DEP_1)
	v_dual_lshrrev_b32 v81, 14, v80 :: v_dual_lshrrev_b32 v68, 22, v79
	v_and_b32_e32 v81, 0x3fc, v81
	s_delay_alu instid0(VALU_DEP_2)
	v_and_b32_e32 v68, 0x3fc, v68
	global_load_b32 v68, v68, s[14:15]
	global_load_b32 v81, v81, s[12:13]
	s_wait_loadcnt 0x0
	v_dual_lshrrev_b32 v81, 6, v4 :: v_dual_bitop2_b32 v68, v68, v81 bitop3:0x14
	v_lshrrev_b32_e32 v4, 14, v4
	s_delay_alu instid0(VALU_DEP_2) | instskip(NEXT) | instid1(VALU_DEP_2)
	v_and_b32_e32 v81, 0x3fc, v81
	v_and_b32_e32 v4, 0x3fc, v4
	global_load_b32 v3, v3, s[16:17] scale_offset
	global_load_b32 v81, v81, s[2:3]
	s_wait_loadcnt 0x0
	v_xor3_b32 v3, v68, v81, v3
	v_lshrrev_b32_e32 v68, 22, v80
	s_delay_alu instid0(VALU_DEP_1) | instskip(SKIP_4) | instid1(VALU_DEP_1)
	v_and_b32_e32 v68, 0x3fc, v68
	global_load_b32 v68, v68, s[14:15]
	global_load_b32 v4, v4, s[12:13]
	s_wait_loadcnt 0x0
	v_dual_lshrrev_b32 v68, 6, v67 :: v_dual_bitop2_b32 v4, v68, v4 bitop3:0x14
	v_and_b32_e32 v68, 0x3fc, v68
	global_load_b32 v66, v66, s[16:17] scale_offset
	global_load_b32 v68, v68, s[2:3]
	s_wait_loadcnt 0x0
	v_xor3_b32 v4, v4, v68, v66
	v_lshrrev_b32_e32 v66, 22, v67
	v_dual_lshrrev_b32 v67, 14, v79 :: v_dual_bitop2_b32 v79, v3, v56 bitop3:0x14
	v_bitop3_b32 v3, v3, 0xff, v56 bitop3:0x48
	s_delay_alu instid0(VALU_DEP_3) | instskip(NEXT) | instid1(VALU_DEP_3)
	v_and_b32_e32 v66, 0x3fc, v66
	v_and_b32_e32 v67, 0x3fc, v67
	global_load_b32 v66, v66, s[14:15]
	global_load_b32 v67, v67, s[12:13]
	s_wait_loadcnt 0x0
	v_dual_lshrrev_b32 v67, 6, v80 :: v_dual_bitop2_b32 v66, v66, v67 bitop3:0x14
	v_lshrrev_b32_e32 v80, 6, v79
	s_delay_alu instid0(VALU_DEP_2)
	v_and_b32_e32 v67, 0x3fc, v67
	global_load_b32 v5, v5, s[16:17] scale_offset
	global_load_b32 v67, v67, s[2:3]
	global_load_b32 v6, v6, s[16:17] scale_offset
	v_and_b32_e32 v80, 0x3fc, v80
	s_wait_loadcnt 0x1
	s_wait_xcnt 0x2
	v_xor3_b32 v5, v66, v67, v5
	s_wait_loadcnt 0x0
	v_xor3_b32 v6, v65, v6, v27
	s_delay_alu instid0(VALU_DEP_2) | instskip(NEXT) | instid1(VALU_DEP_2)
	v_xor_b32_e32 v67, v5, v52
	v_xor_b32_e32 v65, v6, v28
	v_bitop3_b32 v5, v5, 0xff, v52 bitop3:0x48
	v_bitop3_b32 v6, v6, 0xff, v28 bitop3:0x48
	s_delay_alu instid0(VALU_DEP_3) | instskip(NEXT) | instid1(VALU_DEP_1)
	v_dual_lshrrev_b32 v68, 14, v67 :: v_dual_lshrrev_b32 v66, 22, v65
	v_and_b32_e32 v68, 0x3fc, v68
	s_delay_alu instid0(VALU_DEP_2)
	v_and_b32_e32 v66, 0x3fc, v66
	global_load_b32 v66, v66, s[14:15]
	global_load_b32 v68, v68, s[12:13]
	;; [unrolled: 1-line block ×3, first 2 shown]
	s_wait_loadcnt 0x0
	v_xor3_b32 v66, v66, v68, v80
	v_dual_lshrrev_b32 v68, 22, v79 :: v_dual_bitop2_b32 v80, v4, v28 bitop3:0x14
	v_bitop3_b32 v4, v4, 0xff, v28 bitop3:0x48
	s_delay_alu instid0(VALU_DEP_2) | instskip(NEXT) | instid1(VALU_DEP_3)
	v_lshrrev_b32_e32 v81, 14, v80
	v_and_b32_e32 v68, 0x3fc, v68
	s_delay_alu instid0(VALU_DEP_2)
	v_and_b32_e32 v81, 0x3fc, v81
	global_load_b32 v68, v68, s[14:15]
	global_load_b32 v81, v81, s[12:13]
	s_wait_loadcnt 0x0
	v_xor_b32_e32 v68, v68, v81
	v_dual_lshrrev_b32 v81, 6, v65 :: v_dual_lshrrev_b32 v65, 14, v65
	s_delay_alu instid0(VALU_DEP_1) | instskip(NEXT) | instid1(VALU_DEP_2)
	v_and_b32_e32 v81, 0x3fc, v81
	v_and_b32_e32 v65, 0x3fc, v65
	global_load_b32 v5, v5, s[16:17] scale_offset
	global_load_b32 v81, v81, s[2:3]
	s_wait_loadcnt 0x0
	v_xor3_b32 v5, v68, v81, v5
	v_lshrrev_b32_e32 v68, 22, v80
	s_delay_alu instid0(VALU_DEP_1) | instskip(SKIP_4) | instid1(VALU_DEP_1)
	v_and_b32_e32 v68, 0x3fc, v68
	global_load_b32 v68, v68, s[14:15]
	global_load_b32 v65, v65, s[12:13]
	s_wait_loadcnt 0x0
	v_dual_lshrrev_b32 v68, 6, v67 :: v_dual_bitop2_b32 v65, v68, v65 bitop3:0x14
	v_and_b32_e32 v68, 0x3fc, v68
	global_load_b32 v3, v3, s[16:17] scale_offset
	global_load_b32 v68, v68, s[2:3]
	s_wait_loadcnt 0x0
	v_xor3_b32 v3, v65, v68, v3
	v_lshrrev_b32_e32 v65, 22, v67
	v_lshrrev_b32_e32 v67, 14, v79
	s_delay_alu instid0(VALU_DEP_2) | instskip(NEXT) | instid1(VALU_DEP_2)
	v_and_b32_e32 v65, 0x3fc, v65
	v_and_b32_e32 v67, 0x3fc, v67
	global_load_b32 v65, v65, s[14:15]
	global_load_b32 v67, v67, s[12:13]
	s_wait_loadcnt 0x0
	v_dual_lshrrev_b32 v67, 6, v80 :: v_dual_bitop2_b32 v65, v65, v67 bitop3:0x14
	s_delay_alu instid0(VALU_DEP_1)
	v_and_b32_e32 v67, 0x3fc, v67
	global_load_b32 v6, v6, s[16:17] scale_offset
	global_load_b32 v67, v67, s[2:3]
	global_load_b32 v4, v4, s[16:17] scale_offset
	s_wait_loadcnt 0x1
	s_wait_xcnt 0x2
	v_xor3_b32 v6, v65, v67, v6
	s_wait_loadcnt 0x0
	v_xor3_b32 v4, v66, v4, v23
	v_xor_b32_e32 v65, v3, v37
	v_bitop3_b32 v3, v3, 0xff, v37 bitop3:0x48
	v_xor_b32_e32 v79, v6, v7
	s_delay_alu instid0(VALU_DEP_4) | instskip(SKIP_2) | instid1(VALU_DEP_4)
	v_xor_b32_e32 v67, v4, v37
	v_bitop3_b32 v6, v6, 0xff, v7 bitop3:0x48
	v_bitop3_b32 v4, v4, 0xff, v37 bitop3:0x48
	v_dual_lshrrev_b32 v81, 14, v65 :: v_dual_lshrrev_b32 v80, 6, v79
	s_delay_alu instid0(VALU_DEP_4) | instskip(SKIP_1) | instid1(VALU_DEP_3)
	v_dual_lshrrev_b32 v66, 22, v65 :: v_dual_lshrrev_b32 v68, 14, v67
	v_lshrrev_b32_e32 v65, 6, v65
	v_and_b32_e32 v81, 0x3fc, v81
	s_delay_alu instid0(VALU_DEP_4) | instskip(NEXT) | instid1(VALU_DEP_4)
	v_and_b32_e32 v80, 0x3fc, v80
	v_and_b32_e32 v66, 0x3fc, v66
	;; [unrolled: 1-line block ×3, first 2 shown]
	global_load_b32 v66, v66, s[14:15]
	global_load_b32 v68, v68, s[12:13]
	;; [unrolled: 1-line block ×3, first 2 shown]
	v_and_b32_e32 v65, 0x3fc, v65
	s_wait_loadcnt 0x0
	v_xor3_b32 v66, v66, v68, v80
	v_xor_b32_e32 v68, v5, v39
	v_bitop3_b32 v5, v5, 0xff, v39 bitop3:0x48
	s_delay_alu instid0(VALU_DEP_2) | instskip(NEXT) | instid1(VALU_DEP_1)
	v_lshrrev_b32_e32 v80, 22, v68
	v_and_b32_e32 v80, 0x3fc, v80
	global_load_b32 v80, v80, s[14:15]
	global_load_b32 v81, v81, s[12:13]
	s_wait_loadcnt 0x0
	v_dual_lshrrev_b32 v81, 6, v67 :: v_dual_bitop2_b32 v80, v80, v81 bitop3:0x14
	v_lshrrev_b32_e32 v67, 22, v67
	s_delay_alu instid0(VALU_DEP_2)
	v_and_b32_e32 v81, 0x3fc, v81
	global_load_b32 v6, v6, s[16:17] scale_offset
	global_load_b32 v81, v81, s[2:3]
	v_and_b32_e32 v67, 0x3fc, v67
	s_wait_loadcnt 0x0
	v_xor3_b32 v6, v80, v81, v6
	v_lshrrev_b32_e32 v80, 14, v79
	s_delay_alu instid0(VALU_DEP_1)
	v_and_b32_e32 v80, 0x3fc, v80
	global_load_b32 v67, v67, s[14:15]
	global_load_b32 v80, v80, s[12:13]
	s_wait_loadcnt 0x0
	v_xor_b32_e32 v67, v67, v80
	v_dual_lshrrev_b32 v80, 6, v68 :: v_dual_lshrrev_b32 v68, 14, v68
	s_delay_alu instid0(VALU_DEP_1) | instskip(NEXT) | instid1(VALU_DEP_2)
	v_and_b32_e32 v80, 0x3fc, v80
	v_and_b32_e32 v68, 0x3fc, v68
	global_load_b32 v3, v3, s[16:17] scale_offset
	global_load_b32 v80, v80, s[2:3]
	s_wait_loadcnt 0x0
	v_xor3_b32 v3, v67, v80, v3
	v_lshrrev_b32_e32 v67, 22, v79
	s_delay_alu instid0(VALU_DEP_1)
	v_and_b32_e32 v67, 0x3fc, v67
	global_load_b32 v67, v67, s[14:15]
	global_load_b32 v68, v68, s[12:13]
	global_load_b32 v4, v4, s[16:17] scale_offset
	global_load_b32 v65, v65, s[2:3]
	global_load_b32 v5, v5, s[16:17] scale_offset
	s_wait_loadcnt 0x3
	s_wait_xcnt 0x4
	v_xor_b32_e32 v67, v67, v68
	s_wait_loadcnt 0x0
	v_xor3_b32 v5, v66, v5, v28
	s_delay_alu instid0(VALU_DEP_2) | instskip(SKIP_1) | instid1(VALU_DEP_3)
	v_xor3_b32 v4, v67, v65, v4
	v_xor_b32_e32 v65, v6, v29
	v_xor_b32_e32 v67, v5, v29
	v_bitop3_b32 v6, v6, 0xff, v29 bitop3:0x48
	v_bitop3_b32 v5, v5, 0xff, v29 bitop3:0x48
	v_bitop3_b32 v80, v4, 0xff, v53 bitop3:0x48
	s_delay_alu instid0(VALU_DEP_4) | instskip(SKIP_1) | instid1(VALU_DEP_2)
	v_dual_lshrrev_b32 v66, 22, v65 :: v_dual_lshrrev_b32 v68, 14, v67
	v_xor_b32_e32 v4, v4, v53
	v_and_b32_e32 v66, 0x3fc, v66
	s_delay_alu instid0(VALU_DEP_3)
	v_and_b32_e32 v68, 0x3fc, v68
	global_load_b32 v66, v66, s[14:15]
	global_load_b32 v68, v68, s[12:13]
	s_wait_loadcnt 0x0
	v_xor_b32_e32 v66, v66, v68
	v_xor_b32_e32 v68, v3, v30
	v_bitop3_b32 v3, v3, 0xff, v30 bitop3:0x48
	s_delay_alu instid0(VALU_DEP_2) | instskip(NEXT) | instid1(VALU_DEP_1)
	v_lshrrev_b32_e32 v79, 6, v68
	v_and_b32_e32 v79, 0x3fc, v79
	global_load_b32 v80, v80, s[16:17] scale_offset
	global_load_b32 v79, v79, s[2:3]
	s_wait_loadcnt 0x0
	v_xor3_b32 v66, v66, v79, v80
	v_dual_lshrrev_b32 v79, 22, v67 :: v_dual_lshrrev_b32 v80, 14, v68
	s_delay_alu instid0(VALU_DEP_1) | instskip(NEXT) | instid1(VALU_DEP_2)
	v_and_b32_e32 v79, 0x3fc, v79
	v_and_b32_e32 v80, 0x3fc, v80
	global_load_b32 v79, v79, s[14:15]
	global_load_b32 v80, v80, s[12:13]
	s_wait_loadcnt 0x0
	v_xor_b32_e32 v79, v79, v80
	v_lshrrev_b32_e32 v80, 6, v4
	v_lshrrev_b32_e32 v68, 22, v68
	s_delay_alu instid0(VALU_DEP_2) | instskip(NEXT) | instid1(VALU_DEP_2)
	v_and_b32_e32 v80, 0x3fc, v80
	v_and_b32_e32 v68, 0x3fc, v68
	global_load_b32 v6, v6, s[16:17] scale_offset
	global_load_b32 v80, v80, s[2:3]
	s_wait_loadcnt 0x0
	v_xor3_b32 v6, v79, v80, v6
	v_dual_lshrrev_b32 v79, 14, v4 :: v_dual_lshrrev_b32 v4, 22, v4
	s_delay_alu instid0(VALU_DEP_1) | instskip(NEXT) | instid1(VALU_DEP_2)
	v_and_b32_e32 v79, 0x3fc, v79
	v_and_b32_e32 v4, 0x3fc, v4
	global_load_b32 v68, v68, s[14:15]
	global_load_b32 v79, v79, s[12:13]
	s_wait_loadcnt 0x0
	v_dual_lshrrev_b32 v79, 6, v65 :: v_dual_bitop2_b32 v68, v68, v79 bitop3:0x14
	v_lshrrev_b32_e32 v65, 14, v65
	s_delay_alu instid0(VALU_DEP_2) | instskip(NEXT) | instid1(VALU_DEP_2)
	v_and_b32_e32 v79, 0x3fc, v79
	v_and_b32_e32 v65, 0x3fc, v65
	global_load_b32 v5, v5, s[16:17] scale_offset
	global_load_b32 v79, v79, s[2:3]
	global_load_b32 v4, v4, s[14:15]
	global_load_b32 v65, v65, s[12:13]
	s_wait_loadcnt 0x2
	s_wait_xcnt 0x3
	v_xor3_b32 v5, v68, v79, v5
	s_wait_loadcnt 0x0
	v_dual_lshrrev_b32 v65, 6, v67 :: v_dual_bitop2_b32 v4, v4, v65 bitop3:0x14
	v_xor_b32_e32 v67, v6, v57
	s_delay_alu instid0(VALU_DEP_3) | instskip(SKIP_1) | instid1(VALU_DEP_4)
	v_xor_b32_e32 v79, v5, v21
	v_bitop3_b32 v5, v5, 0xff, v21 bitop3:0x48
	v_and_b32_e32 v65, 0x3fc, v65
	global_load_b32 v3, v3, s[16:17] scale_offset
	global_load_b32 v65, v65, s[2:3]
	v_lshrrev_b32_e32 v68, 14, v67
	v_lshrrev_b32_e32 v80, 6, v79
	s_delay_alu instid0(VALU_DEP_2) | instskip(NEXT) | instid1(VALU_DEP_2)
	v_and_b32_e32 v68, 0x3fc, v68
	v_and_b32_e32 v80, 0x3fc, v80
	s_wait_loadcnt 0x0
	v_xor3_b32 v3, v4, v65, v3
	v_xor_b32_e32 v4, v66, v41
	v_bitop3_b32 v66, v66, 0xff, v41 bitop3:0x48
	s_delay_alu instid0(VALU_DEP_2) | instskip(SKIP_1) | instid1(VALU_DEP_2)
	v_dual_lshrrev_b32 v65, 22, v4 :: v_dual_lshrrev_b32 v82, 6, v4
	v_lshrrev_b32_e32 v4, 14, v4
	v_and_b32_e32 v65, 0x3fc, v65
	global_load_b32 v65, v65, s[14:15]
	global_load_b32 v68, v68, s[12:13]
	;; [unrolled: 1-line block ×3, first 2 shown]
	v_and_b32_e32 v82, 0x3fc, v82
	v_and_b32_e32 v4, 0x3fc, v4
	s_wait_loadcnt 0x0
	v_xor3_b32 v65, v65, v68, v80
	v_xor_b32_e32 v80, v3, v43
	v_dual_lshrrev_b32 v68, 22, v79 :: v_dual_lshrrev_b32 v79, 14, v79
	v_bitop3_b32 v3, v3, 0xff, v43 bitop3:0x48
	s_delay_alu instid0(VALU_DEP_3) | instskip(NEXT) | instid1(VALU_DEP_3)
	v_lshrrev_b32_e32 v81, 14, v80
	v_and_b32_e32 v68, 0x3fc, v68
	s_delay_alu instid0(VALU_DEP_4) | instskip(NEXT) | instid1(VALU_DEP_3)
	v_and_b32_e32 v79, 0x3fc, v79
	v_and_b32_e32 v81, 0x3fc, v81
	global_load_b32 v68, v68, s[14:15]
	global_load_b32 v81, v81, s[12:13]
	;; [unrolled: 1-line block ×3, first 2 shown]
	s_wait_loadcnt 0x0
	v_xor3_b32 v68, v68, v81, v82
	v_dual_lshrrev_b32 v81, 22, v67 :: v_dual_lshrrev_b32 v67, 6, v67
	s_delay_alu instid0(VALU_DEP_1)
	v_and_b32_e32 v81, 0x3fc, v81
	global_load_b32 v81, v81, s[14:15]
	global_load_b32 v79, v79, s[12:13]
	v_and_b32_e32 v67, 0x3fc, v67
	s_wait_loadcnt 0x0
	v_dual_lshrrev_b32 v81, 6, v80 :: v_dual_bitop2_b32 v79, v81, v79 bitop3:0x14
	s_delay_alu instid0(VALU_DEP_1)
	v_and_b32_e32 v81, 0x3fc, v81
	global_load_b32 v66, v66, s[16:17] scale_offset
	global_load_b32 v81, v81, s[2:3]
	s_wait_loadcnt 0x0
	v_xor3_b32 v66, v79, v81, v66
	v_lshrrev_b32_e32 v79, 22, v80
	s_delay_alu instid0(VALU_DEP_1)
	v_and_b32_e32 v79, 0x3fc, v79
	global_load_b32 v79, v79, s[14:15]
	global_load_b32 v4, v4, s[12:13]
	global_load_b32 v5, v5, s[16:17] scale_offset
	global_load_b32 v67, v67, s[2:3]
	global_load_b32 v3, v3, s[16:17] scale_offset
	s_wait_loadcnt 0x3
	s_wait_xcnt 0x3
	v_xor_b32_e32 v4, v79, v4
	s_wait_loadcnt 0x1
	s_delay_alu instid0(VALU_DEP_1) | instskip(SKIP_3) | instid1(VALU_DEP_4)
	v_xor3_b32 v4, v4, v67, v5
	v_bitop3_b32 v5, v6, 0xff, v57 bitop3:0x48
	v_xor_b32_e32 v67, v66, v58
	v_bitop3_b32 v66, v66, 0xff, v58 bitop3:0x48
	v_bitop3_b32 v80, v4, 0xff, v45 bitop3:0x48
	global_load_b32 v5, v5, s[16:17] scale_offset
	s_wait_loadcnt 0x1
	s_wait_xcnt 0x1
	v_xor3_b32 v3, v65, v3, v29
	s_delay_alu instid0(VALU_DEP_1) | instskip(SKIP_3) | instid1(VALU_DEP_3)
	v_xor_b32_e32 v6, v3, v44
	v_bitop3_b32 v3, v3, 0xff, v44 bitop3:0x48
	s_wait_loadcnt 0x0
	v_xor3_b32 v5, v68, v5, v30
	v_dual_lshrrev_b32 v68, 14, v67 :: v_dual_lshrrev_b32 v65, 22, v6
	s_delay_alu instid0(VALU_DEP_1) | instskip(NEXT) | instid1(VALU_DEP_2)
	v_and_b32_e32 v68, 0x3fc, v68
	v_and_b32_e32 v65, 0x3fc, v65
	global_load_b32 v65, v65, s[2:3]
	global_load_b32 v68, v68, s[16:17]
	s_wait_loadcnt 0x0
	v_perm_b32 v65, v65, v68, 0x7020c0c
	v_xor_b32_e32 v68, v5, v58
	v_bitop3_b32 v5, v5, 0xff, v58 bitop3:0x48
	s_delay_alu instid0(VALU_DEP_2) | instskip(NEXT) | instid1(VALU_DEP_1)
	v_lshrrev_b32_e32 v79, 6, v68
	v_and_b32_e32 v79, 0x3fc, v79
	global_load_b32 v80, v80, s[12:13] scale_offset
	global_load_b32 v79, v79, s[14:15]
	s_wait_loadcnt 0x1
	s_wait_xcnt 0x1
	v_and_b32_e32 v80, 0xff, v80
	s_wait_loadcnt 0x0
	v_and_b32_e32 v79, 0xff00, v79
	s_delay_alu instid0(VALU_DEP_1) | instskip(SKIP_2) | instid1(VALU_DEP_3)
	v_or3_b32 v65, v65, v79, v80
	v_dual_lshrrev_b32 v80, 14, v68 :: v_dual_lshrrev_b32 v79, 22, v67
	v_dual_lshrrev_b32 v68, 22, v68 :: v_dual_bitop2_b32 v4, v4, v45 bitop3:0x14
	v_xor3_b32 v2, v2, v65, v17
	s_delay_alu instid0(VALU_DEP_3) | instskip(NEXT) | instid1(VALU_DEP_4)
	v_and_b32_e32 v80, 0x3fc, v80
	v_and_b32_e32 v79, 0x3fc, v79
	global_load_b32 v79, v79, s[2:3]
	global_load_b32 v80, v80, s[16:17]
	v_and_b32_e32 v68, 0x3fc, v68
	s_wait_loadcnt 0x0
	v_perm_b32 v79, v79, v80, 0x7020c0c
	v_lshrrev_b32_e32 v80, 6, v4
	s_delay_alu instid0(VALU_DEP_1)
	v_and_b32_e32 v80, 0x3fc, v80
	global_load_b32 v3, v3, s[12:13] scale_offset
	global_load_b32 v80, v80, s[14:15]
	s_wait_loadcnt 0x1
	s_wait_xcnt 0x1
	v_and_b32_e32 v3, 0xff, v3
	s_wait_loadcnt 0x0
	v_and_b32_e32 v80, 0xff00, v80
	s_delay_alu instid0(VALU_DEP_1) | instskip(SKIP_1) | instid1(VALU_DEP_2)
	v_or3_b32 v3, v79, v80, v3
	v_dual_lshrrev_b32 v79, 14, v4 :: v_dual_lshrrev_b32 v4, 22, v4
	v_xor3_b32 v1, v1, v3, v16
	s_delay_alu instid0(VALU_DEP_2)
	v_and_b32_e32 v79, 0x3fc, v79
	global_load_b32 v68, v68, s[2:3]
	global_load_b32 v79, v79, s[16:17]
	v_xor3_b32 v3, v21, v64, v73
	v_and_b32_e32 v4, 0x3fc, v4
	s_wait_loadcnt 0x0
	v_perm_b32 v68, v68, v79, 0x7020c0c
	v_lshrrev_b32_e32 v79, 6, v6
	s_delay_alu instid0(VALU_DEP_1)
	v_and_b32_e32 v79, 0x3fc, v79
	global_load_b32 v66, v66, s[12:13] scale_offset
	global_load_b32 v79, v79, s[14:15]
	s_wait_loadcnt 0x1
	s_wait_xcnt 0x1
	v_and_b32_e32 v66, 0xff, v66
	s_wait_loadcnt 0x0
	v_and_b32_e32 v79, 0xff00, v79
	s_delay_alu instid0(VALU_DEP_1) | instskip(NEXT) | instid1(VALU_DEP_1)
	v_or3_b32 v66, v68, v79, v66
	v_xor3_b32 v0, v3, v0, v66
	v_xor_b32_e32 v3, v2, v74
	v_lshrrev_b32_e32 v6, 14, v6
	v_bitop3_b32 v2, v2, 0xff, v74 bitop3:0x48
	s_delay_alu instid0(VALU_DEP_2)
	v_and_b32_e32 v6, 0x3fc, v6
	global_load_b32 v4, v4, s[2:3]
	global_load_b32 v6, v6, s[16:17]
	s_wait_loadcnt 0x0
	v_perm_b32 v4, v4, v6, 0x7020c0c
	v_lshrrev_b32_e32 v6, 6, v67
	s_delay_alu instid0(VALU_DEP_1)
	v_and_b32_e32 v6, 0x3fc, v6
	global_load_b32 v5, v5, s[12:13] scale_offset
	global_load_b32 v6, v6, s[14:15]
	s_wait_loadcnt 0x1
	s_wait_xcnt 0x1
	v_and_b32_e32 v5, 0xff, v5
	s_wait_loadcnt 0x0
	v_and_b32_e32 v6, 0xff00, v6
	s_delay_alu instid0(VALU_DEP_1) | instskip(SKIP_1) | instid1(VALU_DEP_2)
	v_or3_b32 v4, v4, v6, v5
	v_lshrrev_b32_e32 v5, 22, v3
	v_xor3_b32 v4, v7, v4, v73
	s_delay_alu instid0(VALU_DEP_2) | instskip(NEXT) | instid1(VALU_DEP_2)
	v_and_b32_e32 v5, 0x3fc, v5
	v_bitop3_b32 v62, v4, 0xff, v18 bitop3:0x48
	v_xor_b32_e32 v4, v4, v18
	v_xor_b32_e32 v6, v1, v73
	v_bitop3_b32 v1, v1, 0xff, v73 bitop3:0x48
	s_delay_alu instid0(VALU_DEP_2) | instskip(NEXT) | instid1(VALU_DEP_1)
	v_lshrrev_b32_e32 v16, 14, v6
	v_and_b32_e32 v16, 0x3fc, v16
	global_load_b32 v5, v5, s[14:15]
	global_load_b32 v16, v16, s[12:13]
	s_wait_loadcnt 0x0
	v_xor_b32_e32 v5, v5, v16
	v_xor3_b32 v16, v0, v21, v73
	s_delay_alu instid0(VALU_DEP_1) | instskip(NEXT) | instid1(VALU_DEP_1)
	v_xor_b32_e32 v17, v16, v19
	v_dual_lshrrev_b32 v0, 6, v17 :: v_dual_lshrrev_b32 v18, 14, v3
	v_lshrrev_b32_e32 v3, 6, v3
	s_delay_alu instid0(VALU_DEP_2)
	v_and_b32_e32 v0, 0x3fc, v0
	global_load_b32 v62, v62, s[16:17] scale_offset
	global_load_b32 v0, v0, s[2:3]
	v_and_b32_e32 v18, 0x3fc, v18
	v_and_b32_e32 v3, 0x3fc, v3
	s_wait_loadcnt 0x0
	v_xor3_b32 v0, v5, v0, v62
	v_bitop3_b32 v5, v16, 0xff, v19 bitop3:0x48
	v_lshrrev_b32_e32 v16, 22, v4
	s_delay_alu instid0(VALU_DEP_1)
	v_and_b32_e32 v16, 0x3fc, v16
	global_load_b32 v16, v16, s[14:15]
	global_load_b32 v18, v18, s[12:13]
	s_wait_loadcnt 0x0
	v_xor_b32_e32 v16, v16, v18
	v_lshrrev_b32_e32 v18, 6, v6
	s_delay_alu instid0(VALU_DEP_1)
	v_and_b32_e32 v18, 0x3fc, v18
	global_load_b32 v5, v5, s[16:17] scale_offset
	global_load_b32 v18, v18, s[2:3]
	s_wait_loadcnt 0x0
	v_xor3_b32 v5, v16, v18, v5
	v_dual_lshrrev_b32 v16, 14, v17 :: v_dual_lshrrev_b32 v6, 22, v6
	s_delay_alu instid0(VALU_DEP_1) | instskip(NEXT) | instid1(VALU_DEP_2)
	v_and_b32_e32 v16, 0x3fc, v16
	v_and_b32_e32 v6, 0x3fc, v6
	global_load_b32 v6, v6, s[14:15]
	global_load_b32 v16, v16, s[12:13]
	s_wait_loadcnt 0x0
	v_xor_b32_e32 v6, v6, v16
	v_dual_lshrrev_b32 v16, 6, v4 :: v_dual_lshrrev_b32 v4, 14, v4
	s_delay_alu instid0(VALU_DEP_1) | instskip(NEXT) | instid1(VALU_DEP_2)
	v_and_b32_e32 v16, 0x3fc, v16
	v_and_b32_e32 v4, 0x3fc, v4
	global_load_b32 v2, v2, s[16:17] scale_offset
	global_load_b32 v16, v16, s[2:3]
	s_wait_loadcnt 0x0
	v_xor3_b32 v2, v6, v16, v2
	v_lshrrev_b32_e32 v6, 22, v17
	s_delay_alu instid0(VALU_DEP_1)
	v_and_b32_e32 v6, 0x3fc, v6
	global_load_b32 v4, v4, s[12:13]
	global_load_b32 v6, v6, s[14:15]
	global_load_b32 v1, v1, s[16:17] scale_offset
	global_load_b32 v3, v3, s[2:3]
	s_wait_loadcnt 0x2
	s_wait_xcnt 0x3
	v_xor_b32_e32 v4, v6, v4
	v_xor_b32_e32 v6, v0, v15
	v_bitop3_b32 v0, v0, 0xff, v15 bitop3:0x48
	s_delay_alu instid0(VALU_DEP_2)
	v_lshrrev_b32_e32 v16, 14, v6
	s_wait_loadcnt 0x0
	v_xor3_b32 v1, v4, v3, v1
	v_xor_b32_e32 v3, v5, v12
	v_bitop3_b32 v5, v5, 0xff, v12 bitop3:0x48
	v_and_b32_e32 v16, 0x3fc, v16
	s_delay_alu instid0(VALU_DEP_4) | instskip(NEXT) | instid1(VALU_DEP_4)
	v_bitop3_b32 v18, v1, 0xff, v14 bitop3:0x48
	v_lshrrev_b32_e32 v4, 22, v3
	s_delay_alu instid0(VALU_DEP_1)
	v_and_b32_e32 v4, 0x3fc, v4
	global_load_b32 v4, v4, s[14:15]
	global_load_b32 v16, v16, s[12:13]
	s_wait_loadcnt 0x0
	v_xor_b32_e32 v4, v4, v16
	v_xor_b32_e32 v16, v2, v13
	;; [unrolled: 1-line block ×3, first 2 shown]
	v_bitop3_b32 v2, v2, 0xff, v13 bitop3:0x48
	s_delay_alu instid0(VALU_DEP_3) | instskip(SKIP_1) | instid1(VALU_DEP_2)
	v_dual_lshrrev_b32 v17, 6, v16 :: v_dual_lshrrev_b32 v12, 22, v6
	v_lshrrev_b32_e32 v14, 14, v16
	v_and_b32_e32 v17, 0x3fc, v17
	s_delay_alu instid0(VALU_DEP_3) | instskip(NEXT) | instid1(VALU_DEP_3)
	v_and_b32_e32 v12, 0x3fc, v12
	v_and_b32_e32 v14, 0x3fc, v14
	global_load_b32 v18, v18, s[16:17] scale_offset
	global_load_b32 v17, v17, s[2:3]
	global_load_b32 v12, v12, s[14:15]
	;; [unrolled: 1-line block ×3, first 2 shown]
	s_wait_loadcnt 0x2
	v_xor3_b32 v4, v4, v17, v18
	s_wait_loadcnt 0x0
	v_dual_lshrrev_b32 v14, 6, v1 :: v_dual_bitop2_b32 v12, v12, v14 bitop3:0x14
	s_delay_alu instid0(VALU_DEP_1)
	v_and_b32_e32 v14, 0x3fc, v14
	global_load_b32 v5, v5, s[16:17] scale_offset
	global_load_b32 v14, v14, s[2:3]
	s_wait_loadcnt 0x0
	v_xor3_b32 v5, v12, v14, v5
	v_dual_lshrrev_b32 v12, 22, v16 :: v_dual_lshrrev_b32 v14, 14, v1
	v_lshrrev_b32_e32 v1, 22, v1
	s_delay_alu instid0(VALU_DEP_2) | instskip(NEXT) | instid1(VALU_DEP_3)
	v_and_b32_e32 v12, 0x3fc, v12
	v_and_b32_e32 v14, 0x3fc, v14
	global_load_b32 v12, v12, s[14:15]
	global_load_b32 v14, v14, s[12:13]
	v_and_b32_e32 v1, 0x3fc, v1
	s_wait_loadcnt 0x0
	v_dual_lshrrev_b32 v14, 6, v3 :: v_dual_bitop2_b32 v12, v12, v14 bitop3:0x14
	v_lshrrev_b32_e32 v3, 14, v3
	s_delay_alu instid0(VALU_DEP_2) | instskip(NEXT) | instid1(VALU_DEP_2)
	v_and_b32_e32 v14, 0x3fc, v14
	v_and_b32_e32 v3, 0x3fc, v3
	global_load_b32 v0, v0, s[16:17] scale_offset
	global_load_b32 v14, v14, s[2:3]
	global_load_b32 v3, v3, s[12:13]
	global_load_b32 v1, v1, s[14:15]
	s_wait_loadcnt 0x2
	s_wait_xcnt 0x3
	v_xor3_b32 v0, v12, v14, v0
	v_bitop3_b32 v14, v4, 0xff, v24 bitop3:0x48
	s_wait_loadcnt 0x0
	v_dual_lshrrev_b32 v3, 6, v6 :: v_dual_bitop2_b32 v1, v1, v3 bitop3:0x14
	v_xor_b32_e32 v4, v4, v24
	v_xor_b32_e32 v6, v0, v10
	v_bitop3_b32 v0, v0, 0xff, v10 bitop3:0x48
	s_delay_alu instid0(VALU_DEP_4) | instskip(SKIP_3) | instid1(VALU_DEP_1)
	v_and_b32_e32 v3, 0x3fc, v3
	global_load_b32 v2, v2, s[16:17] scale_offset
	global_load_b32 v3, v3, s[2:3]
	v_lshrrev_b32_e32 v12, 14, v6
	v_and_b32_e32 v12, 0x3fc, v12
	s_wait_loadcnt 0x0
	v_xor3_b32 v1, v1, v3, v2
	v_xor_b32_e32 v2, v5, v22
	v_bitop3_b32 v5, v5, 0xff, v22 bitop3:0x48
	s_delay_alu instid0(VALU_DEP_2) | instskip(NEXT) | instid1(VALU_DEP_1)
	v_lshrrev_b32_e32 v3, 22, v2
	v_and_b32_e32 v3, 0x3fc, v3
	global_load_b32 v3, v3, s[14:15]
	global_load_b32 v12, v12, s[12:13]
	s_wait_loadcnt 0x0
	v_xor_b32_e32 v3, v3, v12
	v_xor_b32_e32 v12, v1, v20
	v_bitop3_b32 v1, v1, 0xff, v20 bitop3:0x48
	s_delay_alu instid0(VALU_DEP_2) | instskip(NEXT) | instid1(VALU_DEP_1)
	v_lshrrev_b32_e32 v13, 6, v12
	v_and_b32_e32 v13, 0x3fc, v13
	global_load_b32 v14, v14, s[16:17] scale_offset
	global_load_b32 v13, v13, s[2:3]
	s_wait_loadcnt 0x0
	v_xor3_b32 v3, v3, v13, v14
	v_dual_lshrrev_b32 v14, 14, v12 :: v_dual_lshrrev_b32 v13, 22, v6
	v_lshrrev_b32_e32 v6, 6, v6
	s_delay_alu instid0(VALU_DEP_2) | instskip(NEXT) | instid1(VALU_DEP_3)
	v_and_b32_e32 v14, 0x3fc, v14
	v_and_b32_e32 v13, 0x3fc, v13
	s_delay_alu instid0(VALU_DEP_3) | instskip(SKIP_4) | instid1(VALU_DEP_1)
	v_and_b32_e32 v6, 0x3fc, v6
	global_load_b32 v13, v13, s[14:15]
	global_load_b32 v14, v14, s[12:13]
	s_wait_loadcnt 0x0
	v_dual_lshrrev_b32 v14, 6, v4 :: v_dual_bitop2_b32 v13, v13, v14 bitop3:0x14
	v_and_b32_e32 v14, 0x3fc, v14
	global_load_b32 v5, v5, s[16:17] scale_offset
	global_load_b32 v14, v14, s[2:3]
	s_wait_loadcnt 0x0
	v_xor3_b32 v5, v13, v14, v5
	v_dual_lshrrev_b32 v13, 22, v4 :: v_dual_lshrrev_b32 v14, 14, v2
	v_dual_lshrrev_b32 v4, 14, v4 :: v_dual_lshrrev_b32 v2, 6, v2
	s_delay_alu instid0(VALU_DEP_2) | instskip(NEXT) | instid1(VALU_DEP_3)
	v_and_b32_e32 v13, 0x3fc, v13
	v_and_b32_e32 v14, 0x3fc, v14
	global_load_b32 v13, v13, s[14:15]
	global_load_b32 v14, v14, s[12:13]
	global_load_b32 v1, v1, s[16:17] scale_offset
	global_load_b32 v6, v6, s[2:3]
	v_and_b32_e32 v4, 0x3fc, v4
	v_and_b32_e32 v2, 0x3fc, v2
	global_load_b32 v4, v4, s[12:13]
	s_wait_loadcnt 0x3
	s_wait_xcnt 0x4
	v_xor_b32_e32 v13, v13, v14
	s_wait_loadcnt 0x1
	s_wait_xcnt 0x2
	s_delay_alu instid0(VALU_DEP_1) | instskip(SKIP_1) | instid1(VALU_DEP_1)
	v_xor3_b32 v1, v13, v6, v1
	v_lshrrev_b32_e32 v6, 22, v12
	v_and_b32_e32 v6, 0x3fc, v6
	global_load_b32 v10, v6, s[14:15]
	global_load_b32 v12, v0, s[16:17] scale_offset
	global_load_b32 v13, v2, s[2:3]
	s_wait_loadcnt 0x2
	s_wait_xcnt 0x1
	v_xor_b32_e32 v0, v10, v4
	v_xor_b32_e32 v4, v5, v33
	s_wait_xcnt 0x0
	v_xor_b32_e32 v2, v3, v26
	v_bitop3_b32 v3, v3, 0xff, v26 bitop3:0x48
	v_bitop3_b32 v5, v5, 0xff, v33 bitop3:0x48
	;; [unrolled: 1-line block ×3, first 2 shown]
	s_wait_loadcnt 0x0
	v_xor3_b32 v0, v0, v13, v12
	v_dual_lshrrev_b32 v12, 14, v4 :: v_dual_lshrrev_b32 v10, 22, v2
	v_xor_b32_e32 v6, v1, v34
	v_bitop3_b32 v1, v1, 0xff, v34 bitop3:0x48
	s_delay_alu instid0(VALU_DEP_3) | instskip(NEXT) | instid1(VALU_DEP_4)
	v_and_b32_e32 v12, 0x3fc, v12
	v_and_b32_e32 v10, 0x3fc, v10
	global_load_b32 v13, v10, s[14:15]
	global_load_b32 v14, v12, s[12:13]
	s_wait_xcnt 0x1
	v_xor_b32_e32 v10, v0, v9
	v_bitop3_b32 v0, v0, 0xff, v9 bitop3:0x48
	s_wait_loadcnt 0x0
	v_xor_b32_e32 v12, v13, v14
	s_delay_alu instid0(VALU_DEP_3) | instskip(NEXT) | instid1(VALU_DEP_1)
	v_lshrrev_b32_e32 v13, 6, v10
	v_and_b32_e32 v13, 0x3fc, v13
	global_load_b32 v14, v1, s[16:17] scale_offset
	global_load_b32 v15, v13, s[2:3]
	s_wait_xcnt 0x0
	v_lshrrev_b32_e32 v13, 14, v10
	s_delay_alu instid0(VALU_DEP_1) | instskip(SKIP_3) | instid1(VALU_DEP_1)
	v_and_b32_e32 v13, 0x3fc, v13
	s_wait_loadcnt 0x0
	v_xor3_b32 v1, v12, v15, v14
	v_dual_lshrrev_b32 v12, 22, v4 :: v_dual_lshrrev_b32 v4, 6, v4
	v_and_b32_e32 v12, 0x3fc, v12
	s_delay_alu instid0(VALU_DEP_2)
	v_and_b32_e32 v4, 0x3fc, v4
	global_load_b32 v14, v12, s[14:15]
	global_load_b32 v15, v13, s[12:13]
	s_wait_xcnt 0x0
	v_lshrrev_b32_e32 v13, 14, v6
	v_lshrrev_b32_e32 v10, 22, v10
	s_delay_alu instid0(VALU_DEP_2) | instskip(NEXT) | instid1(VALU_DEP_2)
	v_and_b32_e32 v13, 0x3fc, v13
	v_and_b32_e32 v10, 0x3fc, v10
	s_wait_loadcnt 0x0
	v_xor_b32_e32 v12, v14, v15
	global_load_b32 v14, v10, s[14:15]
	global_load_b32 v15, v13, s[12:13]
	s_wait_xcnt 0x0
	v_dual_lshrrev_b32 v13, 22, v6 :: v_dual_lshrrev_b32 v6, 6, v6
	s_delay_alu instid0(VALU_DEP_1) | instskip(NEXT) | instid1(VALU_DEP_2)
	v_and_b32_e32 v13, 0x3fc, v13
	v_and_b32_e32 v6, 0x3fc, v6
	s_wait_loadcnt 0x0
	v_dual_lshrrev_b32 v14, 14, v2 :: v_dual_bitop2_b32 v10, v14, v15 bitop3:0x14
	v_lshrrev_b32_e32 v2, 6, v2
	s_delay_alu instid0(VALU_DEP_2) | instskip(NEXT) | instid1(VALU_DEP_2)
	v_and_b32_e32 v14, 0x3fc, v14
	v_and_b32_e32 v2, 0x3fc, v2
	global_load_b32 v15, v13, s[14:15]
	global_load_b32 v16, v14, s[12:13]
	global_load_b32 v3, v3, s[16:17] scale_offset
	s_wait_loadcnt 0x1
	s_wait_xcnt 0x2
	v_xor_b32_e32 v13, v15, v16
	s_clause 0x1
	global_load_b32 v14, v5, s[16:17] scale_offset
	global_load_b32 v15, v0, s[16:17] scale_offset
	s_clause 0x2
	global_load_b32 v16, v6, s[2:3]
	global_load_b32 v17, v2, s[2:3]
	; meta instruction
	; meta instruction
	;; [unrolled: 1-line block ×4, first 2 shown]
	global_load_b32 v0, v4, s[2:3]
	s_wait_xcnt 0x0
	v_xor_b32_e32 v4, v1, v31
	v_bitop3_b32 v1, v1, 0xff, v31 bitop3:0x48
	s_wait_loadcnt 0x2
	v_xor3_b32 v2, v12, v16, v3
	s_wait_loadcnt 0x1
	v_xor3_b32 v3, v10, v17, v14
	v_dual_lshrrev_b32 v14, 6, v4 :: v_dual_lshrrev_b32 v16, 14, v4
	s_wait_loadcnt 0x0
	v_xor3_b32 v0, v13, v0, v15
	s_delay_alu instid0(VALU_DEP_3) | instskip(SKIP_3) | instid1(VALU_DEP_4)
	v_xor_b32_e32 v6, v3, v8
	v_dual_lshrrev_b32 v4, 22, v4 :: v_dual_bitop2_b32 v5, v2, v47 bitop3:0x14
	v_bitop3_b32 v2, v2, 0xff, v47 bitop3:0x48
	v_bitop3_b32 v3, v3, 0xff, v8 bitop3:0x48
	v_dual_lshrrev_b32 v12, 22, v6 :: v_dual_bitop2_b32 v10, v0, v32 bitop3:0x14
	v_bitop3_b32 v0, v0, 0xff, v32 bitop3:0x48
	v_and_b32_e32 v14, 0x3fc, v14
	v_and_b32_e32 v16, 0x3fc, v16
	s_delay_alu instid0(VALU_DEP_4) | instskip(SKIP_2) | instid1(VALU_DEP_2)
	v_and_b32_e32 v12, 0x3fc, v12
	v_dual_lshrrev_b32 v13, 14, v10 :: v_dual_lshrrev_b32 v15, 22, v10
	v_lshrrev_b32_e32 v32, 14, v60
	v_and_b32_e32 v13, 0x3fc, v13
	s_delay_alu instid0(VALU_DEP_3)
	v_and_b32_e32 v15, 0x3fc, v15
	global_load_b32 v17, v12, s[14:15]
	global_load_b32 v18, v13, s[12:13]
	;; [unrolled: 1-line block ×4, first 2 shown]
                                        ; kill: killed $vgpr15
                                        ; kill: killed $vgpr12
                                        ; kill: killed $vgpr13
                                        ; kill: killed $vgpr14
	global_load_b32 v12, v16, s[12:13]
	s_wait_xcnt 0x0
	v_dual_lshrrev_b32 v14, 14, v5 :: v_dual_lshrrev_b32 v16, 22, v5
	v_dual_lshrrev_b32 v15, 6, v6 :: v_dual_lshrrev_b32 v6, 14, v6
	;; [unrolled: 1-line block ×3, first 2 shown]
	v_and_b32_e32 v4, 0x3fc, v4
	s_delay_alu instid0(VALU_DEP_4)
	v_and_b32_e32 v14, 0x3fc, v14
	v_and_b32_e32 v16, 0x3fc, v16
	;; [unrolled: 1-line block ×3, first 2 shown]
	s_clause 0x1
	global_load_b32 v0, v0, s[16:17] scale_offset
	global_load_b32 v2, v2, s[16:17] scale_offset
	v_and_b32_e32 v15, 0x3fc, v15
	v_and_b32_e32 v10, 0x3fc, v10
	;; [unrolled: 1-line block ×4, first 2 shown]
	s_wait_loadcnt 0x4
	v_xor3_b32 v13, v17, v18, v19
	s_wait_loadcnt 0x2
	v_xor_b32_e32 v12, v20, v12
	global_load_b32 v17, v4, s[14:15]
	global_load_b32 v18, v14, s[12:13]
	;; [unrolled: 1-line block ×4, first 2 shown]
                                        ; kill: killed $vgpr16
                                        ; kill: killed $vgpr4
                                        ; kill: killed $vgpr6
                                        ; kill: killed $vgpr14
	global_load_b32 v4, v3, s[16:17] scale_offset
	s_clause 0x1
	global_load_b32 v6, v5, s[2:3]
	global_load_b32 v14, v15, s[2:3]
	global_load_b32 v16, v1, s[16:17] scale_offset
                                        ; kill: killed $vgpr3
                                        ; kill: killed $vgpr5
                                        ; kill: killed $vgpr1
                                        ; kill: killed $vgpr15
	global_load_b32 v1, v10, s[2:3]
	s_wait_loadcnt 0x9
	v_xor3_b32 v2, v13, v2, v9
	s_wait_loadcnt 0x5
	v_xor_b32_e32 v5, v19, v20
	s_wait_loadcnt 0x3
	v_xor3_b32 v4, v12, v6, v4
	s_wait_loadcnt 0x0
	s_delay_alu instid0(VALU_DEP_2) | instskip(NEXT) | instid1(VALU_DEP_2)
	v_xor3_b32 v1, v5, v1, v16
	v_xor_b32_e32 v5, v4, v46
	v_xor_b32_e32 v3, v17, v18
	v_bitop3_b32 v4, v4, 0xff, v46 bitop3:0x48
	s_delay_alu instid0(VALU_DEP_3) | instskip(NEXT) | instid1(VALU_DEP_3)
	v_dual_lshrrev_b32 v46, 6, v78 :: v_dual_lshrrev_b32 v12, 14, v5
	v_xor3_b32 v0, v3, v14, v0
	s_delay_alu instid0(VALU_DEP_2) | instskip(NEXT) | instid1(VALU_DEP_3)
	v_and_b32_e32 v46, 0x3fc, v46
	v_and_b32_e32 v12, 0x3fc, v12
	s_delay_alu instid0(VALU_DEP_3) | instskip(SKIP_4) | instid1(VALU_DEP_4)
	v_xor_b32_e32 v6, v0, v49
	v_xor_b32_e32 v3, v2, v25
	v_xor_b32_e32 v9, v1, v25
	v_bitop3_b32 v0, v0, 0xff, v49 bitop3:0x48
	v_bitop3_b32 v1, v1, 0xff, v25 bitop3:0x48
	v_dual_lshrrev_b32 v13, 6, v6 :: v_dual_lshrrev_b32 v10, 22, v3
	s_delay_alu instid0(VALU_DEP_4) | instskip(SKIP_1) | instid1(VALU_DEP_3)
	v_dual_lshrrev_b32 v14, 22, v6 :: v_dual_lshrrev_b32 v15, 14, v9
	v_bitop3_b32 v2, v2, 0xff, v25 bitop3:0x48
	v_and_b32_e32 v13, 0x3fc, v13
	s_delay_alu instid0(VALU_DEP_4) | instskip(NEXT) | instid1(VALU_DEP_4)
	v_and_b32_e32 v10, 0x3fc, v10
	v_and_b32_e32 v14, 0x3fc, v14
	;; [unrolled: 1-line block ×3, first 2 shown]
	global_load_b32 v16, v10, s[14:15]
	global_load_b32 v17, v12, s[12:13]
	;; [unrolled: 1-line block ×5, first 2 shown]
	s_wait_xcnt 0x3
	v_dual_lshrrev_b32 v12, 22, v9 :: v_dual_lshrrev_b32 v10, 6, v3
	s_wait_xcnt 0x2
	v_dual_lshrrev_b32 v3, 14, v3 :: v_dual_lshrrev_b32 v13, 6, v5
	v_dual_lshrrev_b32 v5, 22, v5 :: v_dual_lshrrev_b32 v6, 14, v6
	v_lshrrev_b32_e32 v9, 6, v9
	v_and_b32_e32 v12, 0x3fc, v12
	s_delay_alu instid0(VALU_DEP_4)
	v_and_b32_e32 v3, 0x3fc, v3
	s_clause 0x1
	global_load_b32 v4, v4, s[16:17] scale_offset
	global_load_b32 v0, v0, s[16:17] scale_offset
	v_and_b32_e32 v5, 0x3fc, v5
	v_and_b32_e32 v6, 0x3fc, v6
	;; [unrolled: 1-line block ×5, first 2 shown]
	global_load_b32 v14, v12, s[14:15]
	global_load_b32 v15, v3, s[12:13]
	;; [unrolled: 1-line block ×4, first 2 shown]
                                        ; kill: killed $vgpr3
                                        ; kill: killed $vgpr5
                                        ; kill: killed $vgpr12
                                        ; kill: killed $vgpr6
	global_load_b32 v3, v1, s[16:17] scale_offset
	s_clause 0x1
	global_load_b32 v5, v10, s[2:3]
	global_load_b32 v6, v13, s[2:3]
	global_load_b32 v12, v2, s[16:17] scale_offset
                                        ; kill: killed $vgpr2
                                        ; kill: killed $vgpr1
                                        ; kill: killed $vgpr13
                                        ; kill: killed $vgpr10
	global_load_b32 v1, v9, s[2:3]
	s_wait_xcnt 0x1
	v_dual_lshrrev_b32 v34, 14, v69 :: v_dual_bitop2_b32 v2, v72, v75 bitop3:0x14
	v_bitop3_b32 v10, v48, 0xff, v36 bitop3:0x48
	v_bitop3_b32 v13, v51, 0xff, v35 bitop3:0x48
	s_delay_alu instid0(VALU_DEP_3) | instskip(NEXT) | instid1(VALU_DEP_4)
	v_xor3_b32 v2, v2, v71, v70
	v_and_b32_e32 v34, 0x3fc, v34
	s_wait_xcnt 0x0
	s_delay_alu instid0(VALU_DEP_2) | instskip(SKIP_2) | instid1(VALU_DEP_3)
	v_xor_b32_e32 v9, v2, v38
	v_lshrrev_b32_e32 v31, 22, v78
	v_bitop3_b32 v2, v2, 0xff, v38 bitop3:0x48
	v_lshrrev_b32_e32 v33, 14, v9
	s_delay_alu instid0(VALU_DEP_1)
	v_and_b32_e32 v33, 0x3fc, v33
	s_wait_loadcnt 0xd
	v_xor3_b32 v16, v16, v17, v18
	v_dual_lshrrev_b32 v17, 6, v9 :: v_dual_lshrrev_b32 v18, 22, v60
	s_wait_loadcnt 0xb
	v_dual_lshrrev_b32 v9, 22, v9 :: v_dual_bitop2_b32 v19, v19, v20 bitop3:0x14
	v_lshrrev_b32_e32 v20, 6, v69
	v_and_b32_e32 v31, 0x3fc, v31
	v_and_b32_e32 v17, 0x3fc, v17
	;; [unrolled: 1-line block ×5, first 2 shown]
	global_load_b32 v47, v2, s[16:17] scale_offset
	global_load_b32 v48, v31, s[14:15]
	global_load_b32 v49, v32, s[12:13]
	;; [unrolled: 1-line block ×3, first 2 shown]
                                        ; kill: killed $vgpr31
                                        ; kill: killed $vgpr32
                                        ; kill: killed $vgpr2
                                        ; kill: killed $vgpr17
	global_load_b32 v2, v18, s[14:15]
	global_load_b32 v17, v33, s[12:13]
	;; [unrolled: 1-line block ×4, first 2 shown]
                                        ; kill: killed $vgpr34
                                        ; kill: killed $vgpr33
                                        ; kill: killed $vgpr9
                                        ; kill: killed $vgpr18
	global_load_b32 v9, v10, s[16:17] scale_offset
	global_load_b32 v18, v20, s[2:3]
	global_load_b32 v33, v13, s[16:17] scale_offset
	global_load_b32 v34, v46, s[2:3]
                                        ; kill: killed $vgpr13
                                        ; kill: killed $vgpr46
                                        ; kill: killed $vgpr10
                                        ; kill: killed $vgpr20
	global_load_b32 v10, v26, s[16:17] scale_offset
	s_wait_loadcnt 0x14
	s_wait_xcnt 0x2
	v_xor_b32_e32 v13, v14, v15
	s_wait_loadcnt 0x11
	v_xor3_b32 v3, v16, v3, v8
	s_wait_loadcnt 0x10
	v_xor3_b32 v4, v19, v5, v4
	;; [unrolled: 2-line block ×3, first 2 shown]
	v_xor_b32_e32 v8, v3, v35
	v_bitop3_b32 v3, v3, 0xff, v35 bitop3:0x48
	s_delay_alu instid0(VALU_DEP_2) | instskip(SKIP_4) | instid1(VALU_DEP_4)
	v_dual_lshrrev_b32 v15, 6, v8 :: v_dual_bitop2_b32 v6, v0, v35 bitop3:0x14
	v_xor_b32_e32 v5, v4, v36
	v_xor_b32_e32 v14, v22, v24
	v_bitop3_b32 v4, v4, 0xff, v36 bitop3:0x48
	v_bitop3_b32 v0, v0, 0xff, v35 bitop3:0x48
	v_dual_lshrrev_b32 v16, 22, v6 :: v_dual_lshrrev_b32 v13, 22, v5
	s_wait_loadcnt 0xd
	v_xor3_b32 v1, v14, v1, v12
	v_dual_lshrrev_b32 v14, 14, v6 :: v_dual_lshrrev_b32 v6, 6, v6
	v_and_b32_e32 v15, 0x3fc, v15
	s_delay_alu instid0(VALU_DEP_3)
	v_dual_lshrrev_b32 v19, 14, v8 :: v_dual_bitop2_b32 v12, v1, v38 bitop3:0x14
	v_bitop3_b32 v1, v1, 0xff, v38 bitop3:0x48
	v_dual_lshrrev_b32 v8, 22, v8 :: v_dual_lshrrev_b32 v24, 6, v5
	v_and_b32_e32 v13, 0x3fc, v13
	v_and_b32_e32 v14, 0x3fc, v14
	;; [unrolled: 1-line block ×4, first 2 shown]
	v_dual_lshrrev_b32 v20, 6, v12 :: v_dual_lshrrev_b32 v22, 14, v12
	v_dual_lshrrev_b32 v12, 22, v12 :: v_dual_lshrrev_b32 v5, 14, v5
	v_and_b32_e32 v19, 0x3fc, v19
	s_clause 0x1
	global_load_b32 v1, v1, s[16:17] scale_offset
	global_load_b32 v4, v4, s[16:17] scale_offset
	v_and_b32_e32 v8, 0x3fc, v8
	v_and_b32_e32 v24, 0x3fc, v24
	;; [unrolled: 1-line block ×6, first 2 shown]
	global_load_b32 v26, v13, s[14:15]
	global_load_b32 v35, v14, s[12:13]
	;; [unrolled: 1-line block ×5, first 2 shown]
                                        ; kill: killed $vgpr16
                                        ; kill: killed $vgpr13
                                        ; kill: killed $vgpr19
                                        ; kill: killed $vgpr14
                                        ; kill: killed $vgpr20
	global_load_b32 v13, v8, s[14:15]
	global_load_b32 v14, v22, s[12:13]
	;; [unrolled: 1-line block ×4, first 2 shown]
	global_load_b32 v20, v0, s[16:17] scale_offset
                                        ; kill: killed $vgpr12
                                        ; kill: killed $vgpr8
                                        ; kill: killed $vgpr5
                                        ; kill: killed $vgpr22
                                        ; kill: killed $vgpr0
	global_load_b32 v0, v15, s[2:3]
	global_load_b32 v5, v3, s[16:17] scale_offset
	s_clause 0x1
	global_load_b32 v8, v24, s[2:3]
	global_load_b32 v12, v6, s[2:3]
	s_wait_xcnt 0x2
	v_xor_b32_e32 v3, v76, v77
	s_wait_loadcnt 0x1c
	s_delay_alu instid0(VALU_DEP_1)
	v_xor3_b32 v3, v3, v59, v47
	s_wait_loadcnt 0x19
	s_wait_xcnt 0x0
	v_xor3_b32 v6, v48, v49, v51
	s_wait_loadcnt 0x15
	v_xor_b32_e32 v15, v31, v32
	s_wait_loadcnt 0x14
	s_delay_alu instid0(VALU_DEP_2) | instskip(SKIP_1) | instid1(VALU_DEP_2)
	v_xor3_b32 v6, v6, v9, v25
	s_wait_loadcnt 0x10
	v_xor3_b32 v9, v15, v34, v10
	s_delay_alu instid0(VALU_DEP_2) | instskip(SKIP_3) | instid1(VALU_DEP_4)
	v_xor_b32_e32 v15, v6, v50
	v_xor_b32_e32 v10, v3, v50
	v_bitop3_b32 v3, v3, 0xff, v50 bitop3:0x48
	v_bitop3_b32 v6, v6, 0xff, v50 bitop3:0x48
	v_dual_lshrrev_b32 v31, 14, v15 :: v_dual_bitop2_b32 v2, v2, v17 bitop3:0x14
	s_delay_alu instid0(VALU_DEP_4)
	v_dual_lshrrev_b32 v22, 22, v10 :: v_dual_lshrrev_b32 v24, 6, v10
	s_clause 0x1
	global_load_b32 v3, v3, s[16:17] scale_offset
	global_load_b32 v6, v6, s[16:17] scale_offset
	v_xor3_b32 v2, v2, v18, v33
	v_and_b32_e32 v22, 0x3fc, v22
	v_lshrrev_b32_e32 v10, 14, v10
	v_and_b32_e32 v31, 0x3fc, v31
	v_and_b32_e32 v24, 0x3fc, v24
	v_xor_b32_e32 v17, v2, v27
	global_load_b32 v22, v22, s[14:15]
	v_and_b32_e32 v10, 0x3fc, v10
	v_bitop3_b32 v2, v2, 0xff, v27 bitop3:0x48
	v_dual_lshrrev_b32 v32, 6, v17 :: v_dual_bitop2_b32 v18, v9, v54 bitop3:0x14
	v_lshrrev_b32_e32 v33, 22, v15
	v_bitop3_b32 v9, v9, 0xff, v54 bitop3:0x48
	v_dual_lshrrev_b32 v34, 14, v17 :: v_dual_lshrrev_b32 v17, 22, v17
	s_delay_alu instid0(VALU_DEP_4)
	v_dual_lshrrev_b32 v48, 14, v18 :: v_dual_lshrrev_b32 v47, 6, v18
	global_load_b32 v9, v9, s[16:17] scale_offset
	v_dual_lshrrev_b32 v18, 22, v18 :: v_dual_lshrrev_b32 v15, 6, v15
	v_and_b32_e32 v33, 0x3fc, v33
	v_and_b32_e32 v34, 0x3fc, v34
	;; [unrolled: 1-line block ×4, first 2 shown]
	global_load_b32 v10, v10, s[12:13]
	s_wait_loadcnt 0xc
	v_xor_b32_e32 v13, v13, v14
	v_and_b32_e32 v48, 0x3fc, v48
	v_and_b32_e32 v47, 0x3fc, v47
	;; [unrolled: 1-line block ×4, first 2 shown]
	global_load_b32 v49, v31, s[12:13]
	global_load_b32 v51, v33, s[14:15]
	;; [unrolled: 1-line block ×5, first 2 shown]
                                        ; kill: killed $vgpr31
                                        ; kill: killed $vgpr17
                                        ; kill: killed $vgpr33
                                        ; kill: killed $vgpr48
                                        ; kill: killed $vgpr34
	global_load_b32 v17, v18, s[14:15]
	global_load_b32 v31, v2, s[16:17] scale_offset
	s_clause 0x3
	global_load_b32 v33, v32, s[2:3]
	global_load_b32 v34, v47, s[2:3]
	;; [unrolled: 1-line block ×3, first 2 shown]
	; meta instruction
	; meta instruction
	;; [unrolled: 1-line block ×5, first 2 shown]
	global_load_b32 v2, v15, s[2:3]
	s_wait_xcnt 0x0
	v_xor_b32_e32 v15, v26, v35
	v_xor3_b32 v18, v36, v38, v46
	s_wait_loadcnt 0x13
	s_delay_alu instid0(VALU_DEP_2) | instskip(NEXT) | instid1(VALU_DEP_2)
	v_xor3_b32 v0, v15, v0, v1
	v_xor3_b32 v1, v18, v4, v25
	s_wait_loadcnt 0x11
	v_xor3_b32 v4, v13, v8, v20
	s_delay_alu instid0(VALU_DEP_1) | instskip(SKIP_2) | instid1(VALU_DEP_3)
	v_xor_b32_e32 v13, v4, v27
	v_xor_b32_e32 v14, v16, v19
	v_bitop3_b32 v4, v4, 0xff, v27 bitop3:0x48
	v_lshrrev_b32_e32 v18, 6, v13
	s_wait_loadcnt 0x10
	s_delay_alu instid0(VALU_DEP_3) | instskip(NEXT) | instid1(VALU_DEP_2)
	v_xor3_b32 v5, v14, v12, v5
	v_and_b32_e32 v18, 0x3fc, v18
	s_delay_alu instid0(VALU_DEP_2) | instskip(SKIP_1) | instid1(VALU_DEP_2)
	v_xor_b32_e32 v14, v5, v54
	v_bitop3_b32 v5, v5, 0xff, v54 bitop3:0x48
	v_lshrrev_b32_e32 v24, 6, v14
	v_dual_lshrrev_b32 v20, 14, v13 :: v_dual_bitop2_b32 v12, v1, v50 bitop3:0x14
	v_dual_lshrrev_b32 v13, 22, v13 :: v_dual_bitop2_b32 v8, v0, v50 bitop3:0x14
	v_bitop3_b32 v0, v0, 0xff, v50 bitop3:0x48
	v_bitop3_b32 v1, v1, 0xff, v50 bitop3:0x48
	global_load_b32 v5, v5, s[16:17] scale_offset
	v_lshrrev_b32_e32 v19, 22, v12
	v_lshrrev_b32_e32 v15, 22, v8
	v_dual_lshrrev_b32 v16, 14, v12 :: v_dual_lshrrev_b32 v25, 14, v14
	v_dual_lshrrev_b32 v26, 6, v8 :: v_dual_lshrrev_b32 v14, 22, v14
	v_lshrrev_b32_e32 v8, 14, v8
	v_lshrrev_b32_e32 v12, 6, v12
	v_and_b32_e32 v20, 0x3fc, v20
	v_and_b32_e32 v13, 0x3fc, v13
	s_clause 0x1
	global_load_b32 v0, v0, s[16:17] scale_offset
	global_load_b32 v1, v1, s[16:17] scale_offset
	v_and_b32_e32 v24, 0x3fc, v24
	v_and_b32_e32 v15, 0x3fc, v15
	;; [unrolled: 1-line block ×9, first 2 shown]
	global_load_b32 v32, v15, s[14:15]
	global_load_b32 v35, v16, s[12:13]
	;; [unrolled: 1-line block ×8, first 2 shown]
                                        ; kill: killed $vgpr19
                                        ; kill: killed $vgpr8
                                        ; kill: killed $vgpr15
                                        ; kill: killed $vgpr25
                                        ; kill: killed $vgpr20
                                        ; kill: killed $vgpr16
                                        ; kill: killed $vgpr14
                                        ; kill: killed $vgpr13
	global_load_b32 v8, v4, s[16:17] scale_offset
	s_clause 0x3
	global_load_b32 v13, v18, s[2:3]
	global_load_b32 v14, v24, s[2:3]
	;; [unrolled: 1-line block ×4, first 2 shown]
	s_wait_loadcnt 0x1a
	s_wait_xcnt 0x4
	v_xor_b32_e32 v4, v22, v49
	s_wait_loadcnt 0x16
	s_wait_xcnt 0x3
	v_xor_b32_e32 v18, v60, v61
	s_wait_loadcnt 0x13
	v_xor3_b32 v4, v4, v33, v9
	s_wait_loadcnt 0x11
	s_delay_alu instid0(VALU_DEP_2) | instskip(NEXT) | instid1(VALU_DEP_2)
	v_xor3_b32 v6, v18, v48, v6
	v_xor_b32_e32 v9, v4, v40
	s_wait_xcnt 0x0
	v_xor_b32_e32 v12, v51, v59
	v_bitop3_b32 v4, v4, 0xff, v40 bitop3:0x48
	s_delay_alu instid0(VALU_DEP_3) | instskip(NEXT) | instid1(VALU_DEP_3)
	v_lshrrev_b32_e32 v18, 22, v9
	v_xor3_b32 v3, v12, v34, v3
	v_xor_b32_e32 v12, v6, v23
	v_xor_b32_e32 v10, v17, v10
	v_bitop3_b32 v6, v6, 0xff, v23 bitop3:0x48
	v_and_b32_e32 v18, 0x3fc, v18
	global_load_b32 v4, v4, s[16:17] scale_offset
	v_lshrrev_b32_e32 v20, 6, v12
	s_wait_loadcnt 0x11
	v_xor3_b32 v2, v10, v2, v31
	s_delay_alu instid0(VALU_DEP_2) | instskip(NEXT) | instid1(VALU_DEP_2)
	v_and_b32_e32 v20, 0x3fc, v20
	v_xor_b32_e32 v17, v2, v42
	v_bitop3_b32 v2, v2, 0xff, v42 bitop3:0x48
	s_delay_alu instid0(VALU_DEP_2)
	v_dual_lshrrev_b32 v25, 6, v17 :: v_dual_bitop2_b32 v10, v3, v55 bitop3:0x14
	v_dual_lshrrev_b32 v24, 14, v12 :: v_dual_lshrrev_b32 v12, 22, v12
	v_dual_lshrrev_b32 v26, 14, v17 :: v_dual_lshrrev_b32 v17, 22, v17
	global_load_b32 v2, v2, s[16:17] scale_offset
	v_bitop3_b32 v3, v3, 0xff, v55 bitop3:0x48
	v_dual_lshrrev_b32 v19, 14, v10 :: v_dual_lshrrev_b32 v22, 22, v10
	v_dual_lshrrev_b32 v31, 6, v9 :: v_dual_lshrrev_b32 v9, 14, v9
	v_lshrrev_b32_e32 v10, 6, v10
	v_and_b32_e32 v24, 0x3fc, v24
	v_and_b32_e32 v12, 0x3fc, v12
	;; [unrolled: 1-line block ×10, first 2 shown]
	global_load_b32 v33, v18, s[14:15]
	global_load_b32 v34, v19, s[12:13]
	;; [unrolled: 1-line block ×8, first 2 shown]
                                        ; kill: killed $vgpr17
                                        ; kill: killed $vgpr12
                                        ; kill: killed $vgpr22
                                        ; kill: killed $vgpr18
                                        ; kill: killed $vgpr26
                                        ; kill: killed $vgpr24
                                        ; kill: killed $vgpr19
                                        ; kill: killed $vgpr31
	global_load_b32 v12, v9, s[12:13]
	global_load_b32 v17, v3, s[16:17] scale_offset
	s_clause 0x1
	global_load_b32 v18, v20, s[2:3]
	global_load_b32 v19, v25, s[2:3]
	global_load_b32 v22, v6, s[16:17] scale_offset
	global_load_b32 v24, v10, s[2:3]
	s_wait_loadcnt 0x1b
	s_wait_xcnt 0x4
	v_xor_b32_e32 v3, v32, v35
	s_wait_loadcnt 0x19
	s_wait_xcnt 0x1
	v_xor_b32_e32 v6, v36, v38
	s_wait_loadcnt 0x13
	v_xor3_b32 v3, v3, v13, v5
	s_wait_loadcnt 0x12
	s_delay_alu instid0(VALU_DEP_2) | instskip(NEXT) | instid1(VALU_DEP_2)
	v_xor3_b32 v0, v6, v14, v0
	v_xor_b32_e32 v6, v3, v40
	v_xor_b32_e32 v9, v46, v47
	v_bitop3_b32 v3, v3, 0xff, v40 bitop3:0x48
	s_delay_alu instid0(VALU_DEP_3) | instskip(SKIP_1) | instid1(VALU_DEP_3)
	v_lshrrev_b32_e32 v13, 22, v6
	s_wait_loadcnt 0x11
	v_xor3_b32 v1, v9, v15, v1
	global_load_b32 v3, v3, s[16:17] scale_offset
	v_and_b32_e32 v13, 0x3fc, v13
	v_xor_b32_e32 v9, v1, v23
	s_wait_xcnt 0x1
	v_xor_b32_e32 v10, v50, v54
	v_bitop3_b32 v1, v1, 0xff, v23 bitop3:0x48
	s_delay_alu instid0(VALU_DEP_3) | instskip(SKIP_1) | instid1(VALU_DEP_3)
	v_lshrrev_b32_e32 v15, 6, v9
	s_wait_loadcnt 0x11
	v_xor3_b32 v5, v10, v16, v8
	s_delay_alu instid0(VALU_DEP_2) | instskip(NEXT) | instid1(VALU_DEP_2)
	v_and_b32_e32 v15, 0x3fc, v15
	v_xor_b32_e32 v10, v5, v42
	v_xor_b32_e32 v8, v0, v55
	v_bitop3_b32 v5, v5, 0xff, v42 bitop3:0x48
	v_bitop3_b32 v0, v0, 0xff, v55 bitop3:0x48
	s_delay_alu instid0(VALU_DEP_3)
	v_dual_lshrrev_b32 v25, 6, v10 :: v_dual_lshrrev_b32 v14, 14, v8
	v_dual_lshrrev_b32 v16, 22, v8 :: v_dual_lshrrev_b32 v20, 14, v9
	;; [unrolled: 1-line block ×3, first 2 shown]
	v_lshrrev_b32_e32 v6, 14, v6
	v_dual_lshrrev_b32 v26, 14, v10 :: v_dual_lshrrev_b32 v10, 22, v10
	v_lshrrev_b32_e32 v8, 6, v8
	global_load_b32 v5, v5, s[16:17] scale_offset
	v_and_b32_e32 v14, 0x3fc, v14
	v_and_b32_e32 v16, 0x3fc, v16
	;; [unrolled: 1-line block ×10, first 2 shown]
	global_load_b32 v32, v13, s[14:15]
	global_load_b32 v35, v14, s[12:13]
	;; [unrolled: 1-line block ×9, first 2 shown]
	global_load_b32 v54, v0, s[16:17] scale_offset
	s_clause 0x1
	global_load_b32 v55, v15, s[2:3]
	; meta instruction
	; meta instruction
	;; [unrolled: 1-line block ×11, first 2 shown]
	global_load_b32 v0, v25, s[2:3]
	global_load_b32 v6, v1, s[16:17] scale_offset
	global_load_b32 v9, v8, s[2:3]
	s_wait_loadcnt 0x1c
	s_wait_xcnt 0x1
	v_xor_b32_e32 v1, v33, v34
	s_wait_loadcnt 0x1a
	s_wait_xcnt 0x0
	v_xor_b32_e32 v8, v48, v49
	s_wait_loadcnt 0x17
	v_xor3_b32 v10, v51, v59, v60
	s_wait_loadcnt 0x13
	v_xor3_b32 v1, v1, v18, v2
	s_wait_loadcnt 0x12
	v_xor3_b32 v2, v8, v19, v4
	v_xor3_b32 v4, v10, v17, v27
	s_delay_alu instid0(VALU_DEP_1) | instskip(SKIP_2) | instid1(VALU_DEP_3)
	v_xor_b32_e32 v13, v4, v28
	v_xor_b32_e32 v12, v61, v12
	v_bitop3_b32 v4, v4, 0xff, v28 bitop3:0x48
	v_lshrrev_b32_e32 v17, 6, v13
	s_wait_loadcnt 0x10
	s_delay_alu instid0(VALU_DEP_3) | instskip(NEXT) | instid1(VALU_DEP_2)
	v_xor3_b32 v8, v12, v24, v22
	v_and_b32_e32 v17, 0x3fc, v17
	s_delay_alu instid0(VALU_DEP_2) | instskip(SKIP_1) | instid1(VALU_DEP_2)
	v_xor_b32_e32 v14, v8, v52
	v_bitop3_b32 v8, v8, 0xff, v52 bitop3:0x48
	v_dual_lshrrev_b32 v22, 14, v14 :: v_dual_bitop2_b32 v10, v1, v56 bitop3:0x14
	v_dual_lshrrev_b32 v19, 14, v13 :: v_dual_lshrrev_b32 v13, 22, v13
	v_dual_lshrrev_b32 v20, 6, v14 :: v_dual_bitop2_b32 v12, v2, v28 bitop3:0x14
	v_bitop3_b32 v1, v1, 0xff, v56 bitop3:0x48
	global_load_b32 v8, v8, s[16:17] scale_offset
	v_lshrrev_b32_e32 v14, 22, v14
	v_bitop3_b32 v2, v2, 0xff, v28 bitop3:0x48
	v_dual_lshrrev_b32 v15, 22, v10 :: v_dual_lshrrev_b32 v16, 14, v12
	v_dual_lshrrev_b32 v18, 22, v12 :: v_dual_lshrrev_b32 v24, 6, v10
	;; [unrolled: 1-line block ×3, first 2 shown]
	global_load_b32 v1, v1, s[16:17] scale_offset
	v_and_b32_e32 v19, 0x3fc, v19
	v_and_b32_e32 v13, 0x3fc, v13
	;; [unrolled: 1-line block ×11, first 2 shown]
	global_load_b32 v25, v15, s[14:15]
	global_load_b32 v26, v16, s[12:13]
	;; [unrolled: 1-line block ×9, first 2 shown]
	global_load_b32 v60, v2, s[16:17] scale_offset
	s_clause 0x1
	global_load_b32 v61, v17, s[2:3]
	; meta instruction
	; meta instruction
	;; [unrolled: 1-line block ×11, first 2 shown]
	global_load_b32 v2, v20, s[2:3]
	global_load_b32 v10, v4, s[16:17] scale_offset
	global_load_b32 v13, v12, s[2:3]
	s_wait_loadcnt 0x1a
	s_wait_xcnt 0x0
	v_xor_b32_e32 v12, v36, v38
	s_wait_loadcnt 0x17
	v_xor3_b32 v14, v40, v42, v46
	v_xor_b32_e32 v4, v32, v35
	s_wait_loadcnt 0x13
	s_delay_alu instid0(VALU_DEP_1) | instskip(SKIP_3) | instid1(VALU_DEP_1)
	v_xor3_b32 v4, v4, v55, v5
	s_wait_loadcnt 0x12
	v_xor3_b32 v0, v12, v0, v3
	v_xor3_b32 v3, v14, v54, v27
	v_xor_b32_e32 v12, v3, v28
	v_xor_b32_e32 v15, v47, v50
	v_bitop3_b32 v3, v3, 0xff, v28 bitop3:0x48
	s_delay_alu instid0(VALU_DEP_3) | instskip(SKIP_1) | instid1(VALU_DEP_3)
	v_lshrrev_b32_e32 v17, 6, v12
	s_wait_loadcnt 0x10
	v_xor3_b32 v5, v15, v9, v6
	s_delay_alu instid0(VALU_DEP_2) | instskip(NEXT) | instid1(VALU_DEP_2)
	v_and_b32_e32 v17, 0x3fc, v17
	v_xor_b32_e32 v14, v5, v52
	v_xor_b32_e32 v9, v0, v28
	v_bitop3_b32 v5, v5, 0xff, v52 bitop3:0x48
	v_bitop3_b32 v0, v0, 0xff, v28 bitop3:0x48
	s_delay_alu instid0(VALU_DEP_4) | instskip(NEXT) | instid1(VALU_DEP_4)
	v_dual_lshrrev_b32 v20, 6, v14 :: v_dual_bitop2_b32 v6, v4, v56 bitop3:0x14
	v_dual_lshrrev_b32 v18, 22, v9 :: v_dual_lshrrev_b32 v16, 14, v9
	v_bitop3_b32 v4, v4, 0xff, v56 bitop3:0x48
	global_load_b32 v5, v5, s[16:17] scale_offset
	v_dual_lshrrev_b32 v15, 22, v6 :: v_dual_lshrrev_b32 v24, 6, v6
	v_dual_lshrrev_b32 v22, 14, v14 :: v_dual_lshrrev_b32 v19, 14, v12
	;; [unrolled: 1-line block ×4, first 2 shown]
	v_and_b32_e32 v16, 0x3fc, v16
	v_and_b32_e32 v18, 0x3fc, v18
	global_load_b32 v4, v4, s[16:17] scale_offset
	v_and_b32_e32 v20, 0x3fc, v20
	v_and_b32_e32 v15, 0x3fc, v15
	;; [unrolled: 1-line block ×9, first 2 shown]
	global_load_b32 v27, v15, s[14:15]
	global_load_b32 v32, v16, s[12:13]
	;; [unrolled: 1-line block ×9, first 2 shown]
	global_load_b32 v50, v0, s[16:17] scale_offset
	s_clause 0x1
	global_load_b32 v52, v17, s[2:3]
	global_load_b32 v54, v20, s[2:3]
	global_load_b32 v55, v3, s[16:17] scale_offset
	global_load_b32 v56, v9, s[2:3]
	s_wait_loadcnt 0x1c
	s_wait_xcnt 0x4
	v_xor_b32_e32 v0, v25, v26
	s_wait_loadcnt 0x1a
	s_wait_xcnt 0x1
	v_xor_b32_e32 v3, v31, v33
	s_wait_loadcnt 0x17
	v_xor3_b32 v6, v34, v48, v49
	s_wait_loadcnt 0x13
	v_xor3_b32 v0, v0, v61, v8
	;; [unrolled: 2-line block ×3, first 2 shown]
	v_xor3_b32 v2, v6, v60, v23
	s_delay_alu instid0(VALU_DEP_3) | instskip(SKIP_3) | instid1(VALU_DEP_3)
	v_xor_b32_e32 v6, v0, v39
	s_wait_xcnt 0x0
	v_xor_b32_e32 v9, v51, v59
	v_bitop3_b32 v0, v0, 0xff, v39 bitop3:0x48
	v_lshrrev_b32_e32 v12, 22, v6
	s_wait_loadcnt 0x10
	s_delay_alu instid0(VALU_DEP_3)
	v_xor3_b32 v3, v9, v13, v10
	global_load_b32 v0, v0, s[16:17] scale_offset
	v_and_b32_e32 v12, 0x3fc, v12
	v_xor_b32_e32 v10, v3, v7
	v_xor_b32_e32 v8, v1, v37
	v_bitop3_b32 v3, v3, 0xff, v7 bitop3:0x48
	v_bitop3_b32 v1, v1, 0xff, v37 bitop3:0x48
	s_delay_alu instid0(VALU_DEP_4) | instskip(NEXT) | instid1(VALU_DEP_4)
	v_dual_lshrrev_b32 v17, 6, v10 :: v_dual_bitop2_b32 v9, v2, v37 bitop3:0x14
	v_dual_lshrrev_b32 v15, 22, v8 :: v_dual_lshrrev_b32 v13, 14, v8
	v_bitop3_b32 v2, v2, 0xff, v37 bitop3:0x48
	global_load_b32 v3, v3, s[16:17] scale_offset
	v_dual_lshrrev_b32 v16, 14, v9 :: v_dual_lshrrev_b32 v14, 6, v9
	v_dual_lshrrev_b32 v9, 22, v9 :: v_dual_lshrrev_b32 v18, 14, v10
	;; [unrolled: 1-line block ×4, first 2 shown]
	v_and_b32_e32 v13, 0x3fc, v13
	v_and_b32_e32 v15, 0x3fc, v15
	;; [unrolled: 1-line block ×11, first 2 shown]
	global_load_b32 v20, v12, s[14:15]
	global_load_b32 v22, v13, s[12:13]
	;; [unrolled: 1-line block ×9, first 2 shown]
	global_load_b32 v49, v1, s[16:17] scale_offset
	global_load_b32 v51, v14, s[2:3]
	global_load_b32 v59, v2, s[16:17] scale_offset
	s_clause 0x1
	global_load_b32 v60, v19, s[2:3]
	global_load_b32 v61, v8, s[2:3]
	s_wait_loadcnt 0x1c
	s_wait_xcnt 0x4
	v_xor_b32_e32 v1, v27, v32
	s_wait_loadcnt 0x1a
	s_wait_xcnt 0x2
	v_xor_b32_e32 v2, v35, v36
	s_wait_loadcnt 0x17
	v_xor3_b32 v6, v38, v40, v42
	s_wait_loadcnt 0x13
	v_xor3_b32 v1, v1, v52, v5
	;; [unrolled: 2-line block ×3, first 2 shown]
	v_xor3_b32 v4, v6, v50, v23
	s_delay_alu instid0(VALU_DEP_1) | instskip(SKIP_3) | instid1(VALU_DEP_3)
	v_xor_b32_e32 v9, v4, v37
	s_wait_xcnt 0x0
	v_xor_b32_e32 v8, v46, v47
	v_bitop3_b32 v4, v4, 0xff, v37 bitop3:0x48
	v_lshrrev_b32_e32 v16, 14, v9
	s_wait_loadcnt 0x10
	s_delay_alu instid0(VALU_DEP_3) | instskip(NEXT) | instid1(VALU_DEP_2)
	v_xor3_b32 v5, v8, v56, v55
	v_and_b32_e32 v16, 0x3fc, v16
	s_delay_alu instid0(VALU_DEP_2) | instskip(SKIP_3) | instid1(VALU_DEP_4)
	v_xor_b32_e32 v10, v5, v7
	v_xor_b32_e32 v8, v2, v37
	v_bitop3_b32 v5, v5, 0xff, v7 bitop3:0x48
	v_bitop3_b32 v2, v2, 0xff, v37 bitop3:0x48
	v_dual_lshrrev_b32 v17, 6, v10 :: v_dual_bitop2_b32 v6, v1, v39 bitop3:0x14
	s_delay_alu instid0(VALU_DEP_4)
	v_dual_lshrrev_b32 v13, 14, v8 :: v_dual_lshrrev_b32 v15, 22, v8
	v_bitop3_b32 v1, v1, 0xff, v39 bitop3:0x48
	v_dual_lshrrev_b32 v14, 6, v9 :: v_dual_lshrrev_b32 v9, 22, v9
	v_dual_lshrrev_b32 v18, 14, v10 :: v_dual_lshrrev_b32 v10, 22, v10
	v_lshrrev_b32_e32 v8, 6, v8
	s_clause 0x1
	global_load_b32 v5, v5, s[16:17] scale_offset
	global_load_b32 v1, v1, s[16:17] scale_offset
	v_dual_lshrrev_b32 v12, 22, v6 :: v_dual_lshrrev_b32 v19, 6, v6
	v_lshrrev_b32_e32 v6, 14, v6
	v_and_b32_e32 v13, 0x3fc, v13
	v_and_b32_e32 v15, 0x3fc, v15
	;; [unrolled: 1-line block ×11, first 2 shown]
	global_load_b32 v23, v12, s[14:15]
	global_load_b32 v27, v13, s[12:13]
	;; [unrolled: 1-line block ×9, first 2 shown]
	global_load_b32 v42, v2, s[16:17] scale_offset
	global_load_b32 v46, v14, s[2:3]
	global_load_b32 v47, v4, s[16:17] scale_offset
	s_clause 0x1
	global_load_b32 v50, v19, s[2:3]
	global_load_b32 v52, v8, s[2:3]
	s_wait_loadcnt 0x1c
	s_wait_xcnt 0x4
	v_xor_b32_e32 v2, v20, v22
	s_wait_loadcnt 0x19
	s_wait_xcnt 0x2
	v_xor3_b32 v4, v24, v25, v26
	s_wait_loadcnt 0x15
	s_wait_xcnt 0x0
	v_xor_b32_e32 v8, v34, v48
	s_delay_alu instid0(VALU_DEP_2) | instskip(SKIP_4) | instid1(VALU_DEP_1)
	v_xor3_b32 v0, v4, v0, v28
	s_wait_loadcnt 0x13
	v_xor3_b32 v2, v2, v51, v3
	s_wait_loadcnt 0x10
	v_xor3_b32 v4, v8, v61, v59
	v_xor_b32_e32 v10, v4, v53
	v_xor_b32_e32 v8, v0, v29
	v_bitop3_b32 v4, v4, 0xff, v53 bitop3:0x48
	v_bitop3_b32 v0, v0, 0xff, v29 bitop3:0x48
	s_delay_alu instid0(VALU_DEP_4) | instskip(NEXT) | instid1(VALU_DEP_4)
	v_dual_lshrrev_b32 v17, 6, v10 :: v_dual_bitop2_b32 v6, v31, v33 bitop3:0x14
	v_lshrrev_b32_e32 v13, 14, v8
	global_load_b32 v4, v4, s[16:17] scale_offset
	v_lshrrev_b32_e32 v15, 22, v8
	v_and_b32_e32 v17, 0x3fc, v17
	v_xor3_b32 v3, v6, v60, v49
	v_xor_b32_e32 v6, v2, v29
	v_bitop3_b32 v2, v2, 0xff, v29 bitop3:0x48
	v_and_b32_e32 v13, 0x3fc, v13
	s_delay_alu instid0(VALU_DEP_4) | instskip(NEXT) | instid1(VALU_DEP_4)
	v_dual_lshrrev_b32 v8, 6, v8 :: v_dual_bitop2_b32 v9, v3, v30 bitop3:0x14
	v_lshrrev_b32_e32 v12, 22, v6
	v_bitop3_b32 v3, v3, 0xff, v30 bitop3:0x48
	v_dual_lshrrev_b32 v19, 6, v6 :: v_dual_lshrrev_b32 v6, 14, v6
	v_and_b32_e32 v15, 0x3fc, v15
	s_clause 0x2
	global_load_b32 v2, v2, s[16:17] scale_offset
	global_load_b32 v3, v3, s[16:17] scale_offset
	;; [unrolled: 1-line block ×3, first 2 shown]
	v_dual_lshrrev_b32 v14, 6, v9 :: v_dual_lshrrev_b32 v16, 14, v9
	v_dual_lshrrev_b32 v9, 22, v9 :: v_dual_lshrrev_b32 v18, 14, v10
	v_lshrrev_b32_e32 v10, 22, v10
	v_and_b32_e32 v12, 0x3fc, v12
	v_and_b32_e32 v19, 0x3fc, v19
	;; [unrolled: 1-line block ×9, first 2 shown]
	global_load_b32 v20, v12, s[14:15]
	global_load_b32 v22, v13, s[12:13]
	;; [unrolled: 1-line block ×9, first 2 shown]
	s_clause 0x2
	global_load_b32 v49, v17, s[2:3]
	global_load_b32 v51, v19, s[2:3]
	;; [unrolled: 1-line block ×3, first 2 shown]
	s_wait_loadcnt 0x1c
	s_wait_xcnt 0x3
	v_xor_b32_e32 v6, v23, v27
	s_wait_loadcnt 0x19
	s_wait_xcnt 0x0
	v_xor3_b32 v8, v32, v35, v36
	s_wait_loadcnt 0x17
	v_xor_b32_e32 v9, v37, v38
	s_wait_loadcnt 0x15
	v_xor_b32_e32 v10, v39, v40
	v_xor3_b32 v1, v8, v1, v28
	s_wait_loadcnt 0x13
	v_xor3_b32 v5, v6, v46, v5
	s_wait_loadcnt 0x11
	;; [unrolled: 2-line block ×3, first 2 shown]
	v_xor3_b32 v8, v10, v52, v47
	s_delay_alu instid0(VALU_DEP_2) | instskip(SKIP_3) | instid1(VALU_DEP_4)
	v_xor_b32_e32 v12, v6, v30
	v_xor_b32_e32 v10, v1, v29
	v_bitop3_b32 v1, v1, 0xff, v29 bitop3:0x48
	v_bitop3_b32 v6, v6, 0xff, v30 bitop3:0x48
	v_dual_lshrrev_b32 v18, 14, v12 :: v_dual_bitop2_b32 v9, v5, v29 bitop3:0x14
	s_delay_alu instid0(VALU_DEP_4)
	v_dual_lshrrev_b32 v15, 14, v10 :: v_dual_bitop2_b32 v13, v8, v53 bitop3:0x14
	v_lshrrev_b32_e32 v17, 22, v10
	v_bitop3_b32 v8, v8, 0xff, v53 bitop3:0x48
	v_bitop3_b32 v5, v5, 0xff, v29 bitop3:0x48
	v_dual_lshrrev_b32 v10, 6, v10 :: v_dual_lshrrev_b32 v14, 22, v9
	v_dual_lshrrev_b32 v16, 6, v12 :: v_dual_lshrrev_b32 v19, 6, v13
	;; [unrolled: 1-line block ×3, first 2 shown]
	v_lshrrev_b32_e32 v13, 22, v13
	v_dual_lshrrev_b32 v27, 6, v9 :: v_dual_lshrrev_b32 v9, 14, v9
	v_and_b32_e32 v15, 0x3fc, v15
	v_and_b32_e32 v17, 0x3fc, v17
	;; [unrolled: 1-line block ×3, first 2 shown]
	s_clause 0x2
	global_load_b32 v8, v8, s[16:17] scale_offset
	global_load_b32 v5, v5, s[16:17] scale_offset
	;; [unrolled: 1-line block ×3, first 2 shown]
	v_and_b32_e32 v10, 0x3fc, v10
	v_and_b32_e32 v14, 0x3fc, v14
	;; [unrolled: 1-line block ×9, first 2 shown]
	global_load_b32 v28, v14, s[14:15]
	global_load_b32 v32, v15, s[12:13]
	;; [unrolled: 1-line block ×8, first 2 shown]
	global_load_b32 v42, v6, s[16:17] scale_offset
	s_clause 0x3
	global_load_b32 v46, v16, s[2:3]
	global_load_b32 v47, v19, s[2:3]
	global_load_b32 v50, v27, s[2:3]
	global_load_b32 v52, v10, s[2:3]
	s_wait_loadcnt 0x13
	s_wait_xcnt 0x8
	v_xor_b32_e32 v12, v34, v48
	s_wait_loadcnt 0x10
	s_delay_alu instid0(VALU_DEP_1) | instskip(NEXT) | instid1(VALU_DEP_1)
	v_xor3_b32 v3, v12, v54, v3
	v_xor_b32_e32 v12, v3, v43
	s_wait_xcnt 0x5
	v_xor_b32_e32 v9, v25, v26
	v_bitop3_b32 v3, v3, 0xff, v43 bitop3:0x48
	s_delay_alu instid0(VALU_DEP_3) | instskip(NEXT) | instid1(VALU_DEP_3)
	v_lshrrev_b32_e32 v18, 6, v12
	v_xor3_b32 v2, v9, v49, v2
	global_load_b32 v3, v3, s[16:17] scale_offset
	s_wait_xcnt 0x3
	v_dual_lshrrev_b32 v19, 14, v12 :: v_dual_bitop2_b32 v9, v2, v57 bitop3:0x14
	v_xor_b32_e32 v6, v20, v22
	v_bitop3_b32 v2, v2, 0xff, v57 bitop3:0x48
	s_delay_alu instid0(VALU_DEP_3) | instskip(NEXT) | instid1(VALU_DEP_3)
	v_lshrrev_b32_e32 v14, 14, v9
	v_xor3_b32 v4, v6, v24, v4
	s_delay_alu instid0(VALU_DEP_1) | instskip(SKIP_3) | instid1(VALU_DEP_3)
	v_xor_b32_e32 v6, v4, v41
	s_wait_xcnt 0x1
	v_xor_b32_e32 v10, v31, v33
	v_bitop3_b32 v4, v4, 0xff, v41 bitop3:0x48
	v_lshrrev_b32_e32 v13, 22, v6
	s_delay_alu instid0(VALU_DEP_3)
	v_xor3_b32 v0, v10, v51, v0
	s_clause 0x1
	global_load_b32 v4, v4, s[16:17] scale_offset
	global_load_b32 v2, v2, s[16:17] scale_offset
	v_xor_b32_e32 v10, v0, v21
	v_bitop3_b32 v0, v0, 0xff, v21 bitop3:0x48
	s_delay_alu instid0(VALU_DEP_2)
	v_dual_lshrrev_b32 v15, 6, v10 :: v_dual_lshrrev_b32 v17, 14, v10
	v_dual_lshrrev_b32 v16, 22, v9 :: v_dual_lshrrev_b32 v10, 22, v10
	;; [unrolled: 1-line block ×3, first 2 shown]
	v_lshrrev_b32_e32 v6, 14, v6
	global_load_b32 v22, v0, s[16:17] scale_offset
	s_wait_xcnt 0x0
	v_and_b32_e32 v0, 0x3fc, v13
	v_and_b32_e32 v13, 0x3fc, v14
	v_lshrrev_b32_e32 v9, 6, v9
	v_and_b32_e32 v14, 0x3fc, v15
	v_and_b32_e32 v15, 0x3fc, v16
	;; [unrolled: 1-line block ×9, first 2 shown]
	global_load_b32 v20, v0, s[14:15]
	global_load_b32 v23, v13, s[12:13]
	;; [unrolled: 1-line block ×10, first 2 shown]
	s_wait_loadcnt 0x15
	s_wait_xcnt 0x0
	v_xor_b32_e32 v12, v37, v38
	v_xor_b32_e32 v0, v28, v32
	s_wait_loadcnt 0x13
	v_xor_b32_e32 v13, v39, v40
	v_and_b32_e32 v9, 0x3fc, v9
	global_load_b32 v6, v6, s[12:13]
	s_wait_loadcnt 0x10
	v_xor3_b32 v1, v12, v50, v1
	v_xor3_b32 v0, v0, v46, v8
	s_wait_loadcnt 0xf
	v_xor3_b32 v8, v13, v52, v42
	global_load_b32 v9, v9, s[2:3]
	v_xor_b32_e32 v13, v1, v21
	v_xor_b32_e32 v10, v35, v36
	;; [unrolled: 1-line block ×3, first 2 shown]
	v_bitop3_b32 v8, v8, 0xff, v43 bitop3:0x48
	v_bitop3_b32 v1, v1, 0xff, v21 bitop3:0x48
	v_lshrrev_b32_e32 v17, 6, v13
	v_xor3_b32 v5, v10, v47, v5
	v_lshrrev_b32_e32 v28, 6, v14
	global_load_b32 v8, v8, s[16:17] scale_offset
	v_and_b32_e32 v17, 0x3fc, v17
	v_xor_b32_e32 v12, v5, v57
	v_xor_b32_e32 v10, v0, v41
	v_bitop3_b32 v5, v5, 0xff, v57 bitop3:0x48
	v_bitop3_b32 v0, v0, 0xff, v41 bitop3:0x48
	v_and_b32_e32 v28, 0x3fc, v28
	s_delay_alu instid0(VALU_DEP_4)
	v_dual_lshrrev_b32 v16, 14, v12 :: v_dual_lshrrev_b32 v15, 22, v10
	v_dual_lshrrev_b32 v18, 22, v12 :: v_dual_lshrrev_b32 v19, 14, v13
	;; [unrolled: 1-line block ×3, first 2 shown]
	v_lshrrev_b32_e32 v14, 22, v14
	v_dual_lshrrev_b32 v35, 6, v10 :: v_dual_lshrrev_b32 v10, 14, v10
	v_lshrrev_b32_e32 v12, 6, v12
	global_load_b32 v5, v5, s[16:17] scale_offset
	v_and_b32_e32 v15, 0x3fc, v15
	v_and_b32_e32 v16, 0x3fc, v16
	;; [unrolled: 1-line block ×10, first 2 shown]
	global_load_b32 v36, v15, s[14:15]
	global_load_b32 v37, v16, s[12:13]
	;; [unrolled: 1-line block ×6, first 2 shown]
	s_clause 0x2
	global_load_b32 v42, v28, s[2:3]
	global_load_b32 v43, v17, s[2:3]
	;; [unrolled: 1-line block ×5, first 2 shown]
	s_clause 0x1
	global_load_b32 v50, v0, s[16:17] scale_offset
	global_load_b32 v51, v1, s[16:17] scale_offset
	global_load_b32 v52, v12, s[2:3]
	s_wait_loadcnt 0x1a
	s_wait_xcnt 0x2
	v_xor_b32_e32 v0, v20, v23
	s_wait_loadcnt 0x16
	v_xor3_b32 v10, v25, v26, v27
	s_delay_alu instid0(VALU_DEP_2) | instskip(NEXT) | instid1(VALU_DEP_2)
	v_xor3_b32 v3, v0, v24, v3
	v_xor3_b32 v0, v10, v4, v58
	s_wait_loadcnt 0x14
	s_wait_xcnt 0x1
	v_xor_b32_e32 v1, v31, v33
	s_wait_loadcnt 0x13
	s_delay_alu instid0(VALU_DEP_1) | instskip(SKIP_2) | instid1(VALU_DEP_3)
	v_xor3_b32 v1, v1, v34, v2
	v_xor3_b32 v2, v3, v29, v44
	v_lshrrev_b32_e32 v3, 14, v0
	v_xor3_b32 v1, v1, v30, v58
	s_wait_loadcnt 0x11
	v_xor_b32_e32 v6, v48, v6
	s_delay_alu instid0(VALU_DEP_3) | instskip(NEXT) | instid1(VALU_DEP_3)
	v_and_b32_e32 v3, 0x3fc, v3
	v_lshrrev_b32_e32 v10, 6, v1
	s_wait_loadcnt 0x10
	s_delay_alu instid0(VALU_DEP_3) | instskip(SKIP_1) | instid1(VALU_DEP_2)
	v_xor3_b32 v6, v6, v9, v22
	v_lshrrev_b32_e32 v9, 22, v2
	v_bitop3_b32 v4, v6, 0xff, v45 bitop3:0x48
	global_load_b32 v12, v4, s[12:13] scale_offset
	s_wait_xcnt 0x0
	v_and_b32_e32 v4, 0x3fc, v9
	v_and_b32_e32 v9, 0x3fc, v10
	global_load_b32 v10, v3, s[16:17]
	global_load_b32 v14, v4, s[2:3]
	;; [unrolled: 1-line block ×3, first 2 shown]
	s_wait_loadcnt 0x10
	s_wait_xcnt 0x2
	v_xor_b32_e32 v3, v36, v37
	s_wait_loadcnt 0xb
	s_wait_xcnt 0x1
	v_xor3_b32 v4, v40, v41, v42
	s_wait_loadcnt 0xa
	v_xor3_b32 v3, v3, v43, v8
	s_wait_loadcnt 0x6
	s_delay_alu instid0(VALU_DEP_2) | instskip(SKIP_1) | instid1(VALU_DEP_1)
	v_xor3_b32 v4, v4, v50, v58
	v_xor_b32_e32 v13, v38, v39
	v_xor3_b32 v8, v13, v46, v5
	v_xor3_b32 v5, v3, v29, v44
	s_delay_alu instid0(VALU_DEP_2) | instskip(SKIP_2) | instid1(VALU_DEP_2)
	v_xor3_b32 v3, v8, v30, v58
	s_wait_xcnt 0x0
	v_xor_b32_e32 v9, v47, v49
	v_dual_lshrrev_b32 v13, 22, v5 :: v_dual_lshrrev_b32 v16, 6, v3
	s_wait_loadcnt 0x4
	s_delay_alu instid0(VALU_DEP_2) | instskip(SKIP_1) | instid1(VALU_DEP_3)
	v_xor3_b32 v8, v9, v52, v51
	v_lshrrev_b32_e32 v9, 14, v4
	v_and_b32_e32 v13, 0x3fc, v13
	v_and_b32_e32 v16, 0x3fc, v16
	s_delay_alu instid0(VALU_DEP_4) | instskip(NEXT) | instid1(VALU_DEP_4)
	v_bitop3_b32 v17, v8, 0xff, v45 bitop3:0x48
	v_and_b32_e32 v9, 0x3fc, v9
	global_load_b32 v18, v17, s[12:13] scale_offset
	global_load_b32 v19, v9, s[16:17]
	global_load_b32 v20, v13, s[2:3]
	global_load_b32 v22, v16, s[14:15]
	global_load_b32 v23, v11, s[28:29]
	s_wait_loadcnt 0x8
	s_wait_xcnt 0x3
	v_and_b32_e32 v9, 0xff, v12
	s_wait_loadcnt 0x6
	v_perm_b32 v10, v14, v10, 0x7020c0c
	s_wait_loadcnt 0x5
	v_and_b32_e32 v12, 0xff00, v15
	s_delay_alu instid0(VALU_DEP_1) | instskip(NEXT) | instid1(VALU_DEP_1)
	v_or3_b32 v9, v10, v12, v9
	v_xor_b32_e32 v9, v9, v74
	s_delay_alu instid0(VALU_DEP_1) | instskip(NEXT) | instid1(VALU_DEP_1)
	v_perm_b32 v9, 0, v9, 0x10203
	v_and_b32_e32 v10, 0xff0000, v9
	s_wait_xcnt 0x1
	v_and_b32_e32 v16, 0xff00, v9
	s_wait_loadcnt 0x4
	v_and_b32_e32 v12, 0xff, v18
	s_wait_loadcnt 0x2
	v_perm_b32 v13, v20, v19, 0x7020c0c
	s_wait_loadcnt 0x1
	v_and_b32_e32 v14, 0xff00, v22
	s_wait_loadcnt 0x0
	v_and_b32_e32 v15, 0xff0000, v23
	v_and_b32_e32 v17, 0xff00, v23
	v_xor_b32_e32 v18, v9, v23
	v_bitop3_b32 v9, v9, 0xff, v23 bitop3:0x48
	v_or3_b32 v12, v13, v14, v12
	v_xor_b32_e32 v10, v15, v10
	v_xor_b32_e32 v13, v17, v16
	s_delay_alu instid0(VALU_DEP_3) | instskip(NEXT) | instid1(VALU_DEP_3)
	v_xor_b32_e32 v12, v12, v74
	v_and_or_b32 v10, 0xff000000, v18, v10
	s_delay_alu instid0(VALU_DEP_2) | instskip(NEXT) | instid1(VALU_DEP_2)
	v_perm_b32 v12, 0, v12, 0x10203
	v_or3_b32 v9, v10, v13, v9
	s_delay_alu instid0(VALU_DEP_1)
	v_cmp_eq_u32_e32 vcc_lo, v12, v9
	s_and_b32 exec_lo, exec_lo, vcc_lo
	s_cbranch_execz .LBB0_10
; %bb.6:
	v_dual_lshrrev_b32 v9, 14, v1 :: v_dual_lshrrev_b32 v10, 22, v0
	v_xor_b32_e32 v6, v6, v45
	v_and_b32_e32 v13, 0xff, v2
	v_xor_b32_e32 v8, v8, v45
	s_delay_alu instid0(VALU_DEP_4)
	v_and_b32_e32 v9, 0x3fc, v9
	v_and_b32_e32 v10, 0x3fc, v10
	v_lshrrev_b32_e32 v12, 6, v6
	v_and_b32_e32 v17, 0xff, v5
	v_lshrrev_b32_e32 v16, 6, v8
	global_load_b32 v14, v9, s[16:17]
	global_load_b32 v15, v10, s[2:3]
	s_wait_xcnt 0x1
	v_and_b32_e32 v9, 0x3fc, v12
	global_load_b32 v10, v13, s[12:13] scale_offset
	global_load_b32 v12, v9, s[14:15]
	s_wait_xcnt 0x0
	v_dual_lshrrev_b32 v9, 14, v3 :: v_dual_lshrrev_b32 v13, 22, v4
	s_delay_alu instid0(VALU_DEP_1) | instskip(NEXT) | instid1(VALU_DEP_2)
	v_and_b32_e32 v9, 0x3fc, v9
	v_and_b32_e32 v13, 0x3fc, v13
	global_load_b32 v18, v11, s[28:29] offset:4
	global_load_b32 v19, v9, s[16:17]
	global_load_b32 v20, v13, s[2:3]
	s_wait_xcnt 0x1
	v_and_b32_e32 v9, 0x3fc, v16
	global_load_b32 v11, v17, s[12:13] scale_offset
	global_load_b32 v13, v9, s[14:15]
	s_wait_loadcnt 0x7
	s_wait_xcnt 0x0
	v_perm_b32 v9, v15, v14, 0x7020c0c
	s_wait_loadcnt 0x6
	v_and_b32_e32 v10, 0xff, v10
	s_wait_loadcnt 0x5
	s_delay_alu instid0(VALU_DEP_2) | instskip(NEXT) | instid1(VALU_DEP_1)
	v_and_or_b32 v9, 0xff00, v12, v9
	v_bitop3_b32 v9, v9, v73, v10 bitop3:0x36
	s_wait_loadcnt 0x4
	v_and_b32_e32 v10, 0xff000000, v18
	v_and_b32_e32 v12, 0xff0000, v18
	s_delay_alu instid0(VALU_DEP_3)
	v_perm_b32 v9, 0, v9, 0x10203
	s_wait_loadcnt 0x2
	v_perm_b32 v14, v20, v19, 0x7020c0c
	s_wait_loadcnt 0x1
	v_and_b32_e32 v11, 0xff, v11
	v_and_b32_e32 v15, 0xff000000, v9
	;; [unrolled: 1-line block ×3, first 2 shown]
	s_wait_loadcnt 0x0
	v_and_or_b32 v13, 0xff00, v13, v14
	s_delay_alu instid0(VALU_DEP_3) | instskip(NEXT) | instid1(VALU_DEP_3)
	v_xor_b32_e32 v10, v15, v10
	v_xor_b32_e32 v12, v16, v12
	s_delay_alu instid0(VALU_DEP_3) | instskip(SKIP_2) | instid1(VALU_DEP_4)
	v_bitop3_b32 v11, v13, v73, v11 bitop3:0x36
	v_bitop3_b32 v13, v9, 0xff00, v18 bitop3:0x48
	;; [unrolled: 1-line block ×3, first 2 shown]
	v_or_b32_e32 v10, v10, v12
	s_delay_alu instid0(VALU_DEP_4) | instskip(NEXT) | instid1(VALU_DEP_2)
	v_perm_b32 v11, 0, v11, 0x10203
	v_or3_b32 v9, v10, v13, v9
	s_delay_alu instid0(VALU_DEP_1)
	v_cmp_eq_u32_e32 vcc_lo, v11, v9
	s_and_b32 exec_lo, exec_lo, vcc_lo
	s_cbranch_execz .LBB0_10
; %bb.7:
	v_dual_lshrrev_b32 v9, 22, v1 :: v_dual_lshrrev_b32 v10, 14, v6
	v_lshrrev_b32_e32 v11, 6, v2
	v_and_b32_e32 v12, 0xff, v0
	s_delay_alu instid0(VALU_DEP_3) | instskip(NEXT) | instid1(VALU_DEP_4)
	v_and_b32_e32 v9, 0x3fc, v9
	v_and_b32_e32 v10, 0x3fc, v10
	s_delay_alu instid0(VALU_DEP_4)
	v_and_b32_e32 v11, 0x3fc, v11
	global_load_b32 v13, v12, s[12:13] scale_offset
	global_load_b32 v14, v9, s[2:3]
	global_load_b32 v15, v10, s[16:17]
	;; [unrolled: 1-line block ×3, first 2 shown]
	s_wait_xcnt 0x1
	v_dual_lshrrev_b32 v9, 22, v3 :: v_dual_lshrrev_b32 v10, 14, v8
	s_wait_xcnt 0x0
	v_lshrrev_b32_e32 v11, 6, v5
	v_and_b32_e32 v12, 0xff, v4
	s_delay_alu instid0(VALU_DEP_3) | instskip(SKIP_1) | instid1(VALU_DEP_4)
	v_and_b32_e32 v17, 0x3fc, v9
	v_and_b32_e32 v10, 0x3fc, v10
	;; [unrolled: 1-line block ×3, first 2 shown]
	v_mov_b32_e32 v9, 0
	global_load_b32 v18, v12, s[12:13] scale_offset
	global_load_b32 v19, v17, s[2:3]
	global_load_b32 v20, v10, s[16:17]
	;; [unrolled: 1-line block ×3, first 2 shown]
	global_load_b32 v23, v9, s[28:29] offset:8
	s_wait_loadcnt 0x8
	s_wait_xcnt 0x2
	v_and_b32_e32 v10, 0xff, v13
	s_wait_loadcnt 0x6
	s_wait_xcnt 0x1
	v_perm_b32 v11, v14, v15, 0x7020c0c
	s_wait_loadcnt 0x5
	v_and_b32_e32 v12, 0xff00, v16
	s_delay_alu instid0(VALU_DEP_1)
	v_or3_b32 v10, v11, v12, v10
	s_wait_loadcnt 0x4
	v_and_b32_e32 v11, 0xff, v18
	s_wait_loadcnt 0x2
	v_perm_b32 v12, v19, v20, 0x7020c0c
	s_wait_loadcnt 0x1
	v_and_b32_e32 v13, 0xff00, v22
	v_xor3_b32 v10, v21, v10, v73
	s_wait_loadcnt 0x0
	v_and_b32_e32 v14, 0xff0000, v23
	v_and_b32_e32 v16, 0xff00, v23
	v_or3_b32 v11, v12, v13, v11
	v_perm_b32 v10, 0, v10, 0x10203
	s_delay_alu instid0(VALU_DEP_2) | instskip(NEXT) | instid1(VALU_DEP_2)
	v_xor3_b32 v11, v21, v11, v73
	v_and_b32_e32 v15, 0xff0000, v10
	v_and_b32_e32 v12, 0xff00, v10
	v_xor_b32_e32 v13, v10, v23
	v_bitop3_b32 v10, v10, 0xff, v23 bitop3:0x48
	v_perm_b32 v11, 0, v11, 0x10203
	v_xor_b32_e32 v14, v14, v15
	v_xor_b32_e32 v12, v16, v12
	s_delay_alu instid0(VALU_DEP_2) | instskip(NEXT) | instid1(VALU_DEP_1)
	v_and_or_b32 v13, 0xff000000, v13, v14
	v_or3_b32 v10, v13, v12, v10
	s_delay_alu instid0(VALU_DEP_1)
	v_cmp_eq_u32_e32 vcc_lo, v11, v10
	s_and_b32 exec_lo, exec_lo, vcc_lo
	s_cbranch_execz .LBB0_10
; %bb.8:
	v_dual_lshrrev_b32 v6, 22, v6 :: v_dual_lshrrev_b32 v0, 6, v0
	v_lshrrev_b32_e32 v2, 14, v2
	v_and_b32_e32 v1, 0xff, v1
	v_and_b32_e32 v3, 0xff, v3
	s_delay_alu instid0(VALU_DEP_4)
	v_and_b32_e32 v6, 0x3fc, v6
	v_and_b32_e32 v0, 0x3fc, v0
	v_and_b32_e32 v2, 0x3fc, v2
	global_load_b32 v10, v1, s[12:13] scale_offset
	global_load_b32 v11, v6, s[2:3]
	global_load_b32 v12, v2, s[16:17]
	;; [unrolled: 1-line block ×3, first 2 shown]
	s_wait_xcnt 0x0
	v_dual_lshrrev_b32 v0, 22, v8 :: v_dual_lshrrev_b32 v1, 14, v5
	v_lshrrev_b32_e32 v2, 6, v4
	s_delay_alu instid0(VALU_DEP_2) | instskip(NEXT) | instid1(VALU_DEP_3)
	v_and_b32_e32 v0, 0x3fc, v0
	v_and_b32_e32 v1, 0x3fc, v1
	s_delay_alu instid0(VALU_DEP_3)
	v_and_b32_e32 v2, 0x3fc, v2
	global_load_b32 v4, v3, s[12:13] scale_offset
	global_load_b32 v5, v0, s[2:3]
	global_load_b32 v6, v1, s[16:17]
	;; [unrolled: 1-line block ×3, first 2 shown]
	global_load_b32 v14, v9, s[28:29] offset:12
	s_wait_loadcnt 0x8
	s_wait_xcnt 0x3
	v_and_b32_e32 v0, 0xff, v10
	s_wait_loadcnt 0x6
	s_wait_xcnt 0x2
	v_perm_b32 v1, v11, v12, 0x7020c0c
	s_wait_loadcnt 0x5
	s_wait_xcnt 0x1
	v_and_b32_e32 v2, 0xff00, v13
	s_delay_alu instid0(VALU_DEP_1)
	v_or3_b32 v0, v1, v2, v0
	s_wait_loadcnt 0x4
	v_and_b32_e32 v1, 0xff, v4
	s_wait_loadcnt 0x2
	v_perm_b32 v2, v5, v6, 0x7020c0c
	s_wait_loadcnt 0x1
	v_and_b32_e32 v3, 0xff00, v8
	v_xor3_b32 v0, v7, v0, v73
	s_wait_loadcnt 0x0
	v_and_b32_e32 v4, 0xff0000, v14
	v_and_b32_e32 v6, 0xff00, v14
	v_or3_b32 v1, v2, v3, v1
	v_perm_b32 v0, 0, v0, 0x10203
	s_delay_alu instid0(VALU_DEP_2) | instskip(NEXT) | instid1(VALU_DEP_2)
	v_xor3_b32 v1, v7, v1, v73
	v_and_b32_e32 v5, 0xff0000, v0
	v_and_b32_e32 v2, 0xff00, v0
	v_xor_b32_e32 v3, v0, v14
	v_bitop3_b32 v0, v0, 0xff, v14 bitop3:0x48
	v_perm_b32 v1, 0, v1, 0x10203
	v_xor_b32_e32 v4, v4, v5
	v_xor_b32_e32 v2, v6, v2
	s_delay_alu instid0(VALU_DEP_2) | instskip(NEXT) | instid1(VALU_DEP_1)
	v_and_or_b32 v3, 0xff000000, v3, v4
	v_or3_b32 v0, v3, v2, v0
	s_delay_alu instid0(VALU_DEP_1)
	v_cmp_eq_u32_e32 vcc_lo, v1, v0
	s_and_b32 exec_lo, exec_lo, vcc_lo
	s_cbranch_execz .LBB0_10
; %bb.9:
	s_load_b64 s[0:1], s[0:1], 0x8
	s_wait_kmcnt 0x0
	s_load_b32 s2, s[0:1], 0x0
	s_wait_kmcnt 0x0
	s_add_co_i32 s2, s2, 1
	s_delay_alu instid0(SALU_CYCLE_1)
	v_dual_mov_b32 v0, 0 :: v_dual_mov_b32 v1, s2
	global_store_b32 v0, v1, s[0:1]
.LBB0_10:
	s_sendmsg sendmsg(MSG_DEALLOC_VGPRS)
	s_endpgm
	.section	.rodata,"a",@progbits
	.p2align	6, 0x0
	.amdhsa_kernel _Z20decrypt_vmk_with_macjPiPKhS1_S1_S1_S1_iiiijjjjPKjS3_
		.amdhsa_group_segment_fixed_size 0
		.amdhsa_private_segment_fixed_size 0
		.amdhsa_kernarg_size 360
		.amdhsa_user_sgpr_count 2
		.amdhsa_user_sgpr_dispatch_ptr 0
		.amdhsa_user_sgpr_queue_ptr 0
		.amdhsa_user_sgpr_kernarg_segment_ptr 1
		.amdhsa_user_sgpr_dispatch_id 0
		.amdhsa_user_sgpr_kernarg_preload_length 0
		.amdhsa_user_sgpr_kernarg_preload_offset 0
		.amdhsa_user_sgpr_private_segment_size 0
		.amdhsa_wavefront_size32 1
		.amdhsa_uses_dynamic_stack 0
		.amdhsa_enable_private_segment 0
		.amdhsa_system_sgpr_workgroup_id_x 1
		.amdhsa_system_sgpr_workgroup_id_y 0
		.amdhsa_system_sgpr_workgroup_id_z 0
		.amdhsa_system_sgpr_workgroup_info 0
		.amdhsa_system_vgpr_workitem_id 0
		.amdhsa_next_free_vgpr 95
		.amdhsa_next_free_sgpr 44
		.amdhsa_named_barrier_count 0
		.amdhsa_reserve_vcc 1
		.amdhsa_float_round_mode_32 0
		.amdhsa_float_round_mode_16_64 0
		.amdhsa_float_denorm_mode_32 3
		.amdhsa_float_denorm_mode_16_64 3
		.amdhsa_fp16_overflow 0
		.amdhsa_memory_ordered 1
		.amdhsa_forward_progress 1
		.amdhsa_inst_pref_size 255
		.amdhsa_round_robin_scheduling 0
		.amdhsa_exception_fp_ieee_invalid_op 0
		.amdhsa_exception_fp_denorm_src 0
		.amdhsa_exception_fp_ieee_div_zero 0
		.amdhsa_exception_fp_ieee_overflow 0
		.amdhsa_exception_fp_ieee_underflow 0
		.amdhsa_exception_fp_ieee_inexact 0
		.amdhsa_exception_int_div_zero 0
	.end_amdhsa_kernel
	.text
.Lfunc_end0:
	.size	_Z20decrypt_vmk_with_macjPiPKhS1_S1_S1_S1_iiiijjjjPKjS3_, .Lfunc_end0-_Z20decrypt_vmk_with_macjPiPKhS1_S1_S1_S1_iiiijjjjPKjS3_
                                        ; -- End function
	.set _Z20decrypt_vmk_with_macjPiPKhS1_S1_S1_S1_iiiijjjjPKjS3_.num_vgpr, 95
	.set _Z20decrypt_vmk_with_macjPiPKhS1_S1_S1_S1_iiiijjjjPKjS3_.num_agpr, 0
	.set _Z20decrypt_vmk_with_macjPiPKhS1_S1_S1_S1_iiiijjjjPKjS3_.numbered_sgpr, 44
	.set _Z20decrypt_vmk_with_macjPiPKhS1_S1_S1_S1_iiiijjjjPKjS3_.num_named_barrier, 0
	.set _Z20decrypt_vmk_with_macjPiPKhS1_S1_S1_S1_iiiijjjjPKjS3_.private_seg_size, 0
	.set _Z20decrypt_vmk_with_macjPiPKhS1_S1_S1_S1_iiiijjjjPKjS3_.uses_vcc, 1
	.set _Z20decrypt_vmk_with_macjPiPKhS1_S1_S1_S1_iiiijjjjPKjS3_.uses_flat_scratch, 0
	.set _Z20decrypt_vmk_with_macjPiPKhS1_S1_S1_S1_iiiijjjjPKjS3_.has_dyn_sized_stack, 0
	.set _Z20decrypt_vmk_with_macjPiPKhS1_S1_S1_S1_iiiijjjjPKjS3_.has_recursion, 0
	.set _Z20decrypt_vmk_with_macjPiPKhS1_S1_S1_S1_iiiijjjjPKjS3_.has_indirect_call, 0
	.section	.AMDGPU.csdata,"",@progbits
; Kernel info:
; codeLenInByte = 118244
; TotalNumSgprs: 46
; NumVgprs: 95
; ScratchSize: 0
; MemoryBound: 0
; FloatMode: 240
; IeeeMode: 1
; LDSByteSize: 0 bytes/workgroup (compile time only)
; SGPRBlocks: 0
; VGPRBlocks: 5
; NumSGPRsForWavesPerEU: 46
; NumVGPRsForWavesPerEU: 95
; NamedBarCnt: 0
; Occupancy: 10
; WaveLimiterHint : 0
; COMPUTE_PGM_RSRC2:SCRATCH_EN: 0
; COMPUTE_PGM_RSRC2:USER_SGPR: 2
; COMPUTE_PGM_RSRC2:TRAP_HANDLER: 0
; COMPUTE_PGM_RSRC2:TGID_X_EN: 1
; COMPUTE_PGM_RSRC2:TGID_Y_EN: 0
; COMPUTE_PGM_RSRC2:TGID_Z_EN: 0
; COMPUTE_PGM_RSRC2:TIDIG_COMP_CNT: 0
	.text
	.p2alignl 7, 3214868480
	.fill 96, 4, 3214868480
	.section	.AMDGPU.gpr_maximums,"",@progbits
	.set amdgpu.max_num_vgpr, 0
	.set amdgpu.max_num_agpr, 0
	.set amdgpu.max_num_sgpr, 0
	.text
	.protected	TS0                     ; @TS0
	.type	TS0,@object
	.section	.rodata,"a",@progbits
	.globl	TS0
	.p2align	4, 0x0
TS0:
	.long	3328402341                      ; 0xc66363a5
	.long	4168907908                      ; 0xf87c7c84
	;; [unrolled: 1-line block ×9, first 2 shown]
	.long	33620227                        ; 0x2010103
	.long	3462883241                      ; 0xce6767a9
	.long	1445669757                      ; 0x562b2b7d
	;; [unrolled: 1-line block ×7, first 2 shown]
	.long	528646813                       ; 0x1f82829d
	.long	2311702848                      ; 0x89c9c940
	.long	4202528135                      ; 0xfa7d7d87
	;; [unrolled: 1-line block ×10, first 2 shown]
	.long	597466303                       ; 0x239c9cbf
	.long	1403299063                      ; 0x53a4a4f7
	.long	3832705686                      ; 0xe4727296
	;; [unrolled: 1-line block ×18, first 2 shown]
	.long	706024767                       ; 0x2a15153f
	.long	134480908                       ; 0x804040c
	.long	2512897874                      ; 0x95c7c752
	.long	1176707941                      ; 0x46232365
	;; [unrolled: 1-line block ×3, first 2 shown]
	.long	806885416                       ; 0x30181828
	.long	932615841                       ; 0x379696a1
	;; [unrolled: 1-line block ×7, first 2 shown]
	.long	3756188221                      ; 0xdfe2e23d
	.long	3454790438                      ; 0xcdebeb26
	;; [unrolled: 1-line block ×5, first 2 shown]
	.long	302582043                       ; 0x1209091b
	.long	495158174                       ; 0x1d83839e
	.long	1479289972                      ; 0x582c2c74
	.long	874125870                       ; 0x341a1a2e
	.long	907746093                       ; 0x361b1b2d
	.long	3698224818                      ; 0xdc6e6eb2
	.long	3025820398                      ; 0xb45a5aee
	;; [unrolled: 1-line block ×10, first 2 shown]
	.long	327451799                       ; 0x13848497
	.long	2790478837                      ; 0xa65353f5
	.long	3117535592                      ; 0xb9d1d168
	.long	0                               ; 0x0
	.long	3253595436                      ; 0xc1eded2c
	.long	1075847264                      ; 0x40202060
	;; [unrolled: 1-line block ×20, first 2 shown]
	.long	293963156                       ; 0x11858594
	.long	2319795663                      ; 0x8a4545cf
	.long	3925473552                      ; 0xe9f9f910
	.long	67240454                        ; 0x4020206
	.long	4269768577                      ; 0xfe7f7f81
	.long	2689618160                      ; 0xa05050f0
	;; [unrolled: 1-line block ×3, first 2 shown]
	.long	631218106                       ; 0x259f9fba
	.long	1269344483                      ; 0x4ba8a8e3
	.long	2723238387                      ; 0xa25151f3
	;; [unrolled: 1-line block ×4, first 2 shown]
	.long	93294474                        ; 0x58f8f8a
	.long	1066570413                      ; 0x3f9292ad
	.long	563977660                       ; 0x219d9dbc
	.long	1882732616                      ; 0x70383848
	.long	4059428100                      ; 0xf1f5f504
	.long	1673313503                      ; 0x63bcbcdf
	.long	2008463041                      ; 0x77b6b6c1
	.long	2950355573                      ; 0xafdada75
	.long	1109467491                      ; 0x42212163
	.long	537923632                       ; 0x20101030
	.long	3858759450                      ; 0xe5ffff1a
	.long	4260623118                      ; 0xfdf3f30e
	;; [unrolled: 1-line block ×4, first 2 shown]
	.long	403442708                       ; 0x180c0c14
	.long	638784309                       ; 0x26131335
	.long	3287084079                      ; 0xc3ecec2f
	.long	3193921505                      ; 0xbe5f5fe1
	.long	899127202                       ; 0x359797a2
	.long	2286175436                      ; 0x884444cc
	.long	773265209                       ; 0x2e171739
	.long	2479146071                      ; 0x93c4c457
	.long	1437050866                      ; 0x55a7a7f2
	;; [unrolled: 1-line block ×6, first 2 shown]
	.long	840505643                       ; 0x3219192b
	.long	3866325909                      ; 0xe6737395
	.long	3227541664                      ; 0xc06060a0
	.long	427917720                       ; 0x19818198
	.long	2655997905                      ; 0x9e4f4fd1
	.long	2749160575                      ; 0xa3dcdc7f
	;; [unrolled: 1-line block ×4, first 2 shown]
	.long	999329963                       ; 0x3b9090ab
	.long	193497219                       ; 0xb888883
	.long	2353415882                      ; 0x8c4646ca
	.long	3354324521                      ; 0xc7eeee29
	;; [unrolled: 1-line block ×3, first 2 shown]
	.long	672404540                       ; 0x2814143c
	.long	2816401017                      ; 0xa7dede79
	.long	3160301282                      ; 0xbc5e5ee2
	.long	369822493                       ; 0x160b0b1d
	.long	2916866934                      ; 0xaddbdb76
	.long	3688947771                      ; 0xdbe0e03b
	;; [unrolled: 1-line block ×4, first 2 shown]
	.long	336202270                       ; 0x140a0a1e
	.long	2454276571                      ; 0x924949db
	.long	201721354                       ; 0xc06060a
	.long	1210328172                      ; 0x4824246c
	.long	3093060836                      ; 0xb85c5ce4
	;; [unrolled: 1-line block ×6, first 2 shown]
	.long	965841320                       ; 0x399191a8
	.long	831886756                       ; 0x319595a4
	.long	3554993207                      ; 0xd3e4e437
	.long	4068047243                      ; 0xf279798b
	;; [unrolled: 1-line block ×6, first 2 shown]
	.long	26054028                        ; 0x18d8d8c
	.long	2983581028                      ; 0xb1d5d564
	.long	2622377682                      ; 0x9c4e4ed2
	;; [unrolled: 1-line block ×10, first 2 shown]
	.long	268961816                       ; 0x10080818
	.long	1874508501                      ; 0x6fbabad5
	.long	4034427016                      ; 0xf0787888
	;; [unrolled: 1-line block ×4, first 2 shown]
	.long	941366308                       ; 0x381c1c24
	.long	1470539505                      ; 0x57a6a6f1
	.long	1941222599                      ; 0x73b4b4c7
	;; [unrolled: 1-line block ×9, first 2 shown]
	.long	227249030                       ; 0xd8b8b86
	.long	260737669                       ; 0xf8a8a85
	.long	3765465232                      ; 0xe0707090
	.long	2084453954                      ; 0x7c3e3e42
	;; [unrolled: 1-line block ×5, first 2 shown]
	.long	100860677                       ; 0x6030305
	.long	4160157185                      ; 0xf7f6f601
	.long	470683154                       ; 0x1c0e0e12
	.long	3261161891                      ; 0xc26161a3
	.long	1781871967                      ; 0x6a35355f
	;; [unrolled: 1-line block ×4, first 2 shown]
	.long	394692241                       ; 0x17868691
	.long	2579611992                      ; 0x99c1c158
	.long	974986535                       ; 0x3a1d1d27
	.long	664706745                       ; 0x279e9eb9
	.long	3655459128                      ; 0xd9e1e138
	.long	3958962195                      ; 0xebf8f813
	.long	731420851                       ; 0x2b9898b3
	.long	571543859                       ; 0x22111133
	.long	3530123707                      ; 0xd26969bb
	.long	2849626480                      ; 0xa9d9d970
	.long	126783113                       ; 0x78e8e89
	.long	865375399                       ; 0x339494a7
	;; [unrolled: 1-line block ×3, first 2 shown]
	.long	1008606754                      ; 0x3c1e1e22
	.long	361203602                       ; 0x15878792
	.long	3387549984                      ; 0xc9e9e920
	.long	2278477385                      ; 0x87cece49
	;; [unrolled: 1-line block ×5, first 2 shown]
	.long	59542671                        ; 0x38c8c8f
	.long	1503764984                      ; 0x59a1a1f8
	.long	160008576                       ; 0x9898980
	.long	437062935                       ; 0x1a0d0d17
	.long	1707065306                      ; 0x65bfbfda
	.long	3622233649                      ; 0xd7e6e631
	;; [unrolled: 1-line block ×5, first 2 shown]
	.long	697932208                       ; 0x299999b0
	.long	1512910199                      ; 0x5a2d2d77
	.long	504303377                       ; 0x1e0f0f11
	.long	2075177163                      ; 0x7bb0b0cb
	.long	2824099068                      ; 0xa85454fc
	;; [unrolled: 1-line block ×3, first 2 shown]
	.long	739644986                       ; 0x2c16163a
	.size	TS0, 1024

	.protected	TS1                     ; @TS1
	.type	TS1,@object
	.globl	TS1
	.p2align	4, 0x0
TS1:
	.long	2781242211                      ; 0xa5c66363
	.long	2230877308                      ; 0x84f87c7c
	;; [unrolled: 1-line block ×4, first 2 shown]
	.long	234877682                       ; 0xdfff2f2
	.long	3184946027                      ; 0xbdd66b6b
	.long	2984144751                      ; 0xb1de6f6f
	;; [unrolled: 1-line block ×4, first 2 shown]
	.long	50462977                        ; 0x3020101
	.long	2848876391                      ; 0xa9ce6767
	.long	2102799147                      ; 0x7d562b2b
	.long	434634494                       ; 0x19e7fefe
	.long	1656084439                      ; 0x62b5d7d7
	.long	3863849899                      ; 0xe64dabab
	;; [unrolled: 1-line block ×7, first 2 shown]
	.long	368048890                       ; 0x15effafa
	.long	3954334041                      ; 0xebb25959
	.long	3381544775                      ; 0xc98e4747
	.long	201060592                       ; 0xbfbf0f0
	.long	3963727277                      ; 0xec41adad
	.long	1739838676                      ; 0x67b3d4d4
	;; [unrolled: 1-line block ×9, first 2 shown]
	.long	484572669                       ; 0x1ce1fdfd
	.long	2923271059                      ; 0xae3d9393
	.long	1783375398                      ; 0x6a4c2626
	;; [unrolled: 1-line block ×4, first 2 shown]
	.long	49674231                        ; 0x2f5f7f7
	.long	1334037708                      ; 0x4f83cccc
	.long	1550332980                      ; 0x5c683434
	.long	4098991525                      ; 0xf451a5a5
	.long	886171109                       ; 0x34d1e5e5
	.long	150598129                       ; 0x8f9f1f1
	.long	2481090929                      ; 0x93e27171
	.long	1940642008                      ; 0x73abd8d8
	;; [unrolled: 1-line block ×4, first 2 shown]
	.long	201851908                       ; 0xc080404
	.long	1385547719                      ; 0x5295c7c7
	.long	1699095331                      ; 0x65462323
	;; [unrolled: 1-line block ×3, first 2 shown]
	.long	674240536                       ; 0x28301818
	.long	2704774806                      ; 0xa1379696
	.long	252314885                       ; 0xf0a0505
	.long	3039795866                      ; 0xb52f9a9a
	.long	151914247                       ; 0x90e0707
	.long	908333586                       ; 0x36241212
	.long	2602270848                      ; 0x9b1b8080
	.long	1038082786                      ; 0x3ddfe2e2
	.long	651029483                       ; 0x26cdebeb
	.long	1766729511                      ; 0x694e2727
	.long	3447698098                      ; 0xcd7fb2b2
	.long	2682942837                      ; 0x9fea7575
	.long	454166793                       ; 0x1b120909
	.long	2652734339                      ; 0x9e1d8383
	.long	1951935532                      ; 0x74582c2c
	.long	775166490                       ; 0x2e341a1a
	.long	758520603                       ; 0x2d361b1b
	.long	3000790638                      ; 0xb2dc6e6e
	.long	4004797018                      ; 0xeeb45a5a
	.long	4217086112                      ; 0xfb5ba0a0
	.long	4137964114                      ; 0xf6a45252
	.long	1299594043                      ; 0x4d763b3b
	.long	1639438038                      ; 0x61b7d6d6
	.long	3464344499                      ; 0xce7db3b3
	.long	2068982057                      ; 0x7b522929
	.long	1054729187                      ; 0x3edde3e3
	.long	1901997871                      ; 0x715e2f2f
	.long	2534638724                      ; 0x97138484
	.long	4121318227                      ; 0xf5a65353
	.long	1757008337                      ; 0x68b9d1d1
	.long	0                               ; 0x0
	.long	750906861                       ; 0x2cc1eded
	.long	1614815264                      ; 0x60402020
	.long	535035132                       ; 0x1fe3fcfc
	.long	3363418545                      ; 0xc879b1b1
	.long	3988151131                      ; 0xedb65b5b
	;; [unrolled: 1-line block ×11, first 2 shown]
	.long	717615087                       ; 0x2ac5efef
	.long	3847203498                      ; 0xe54faaaa
	.long	384695291                       ; 0x16edfbfb
	.long	3313910595                      ; 0xc5864343
	.long	3617213773                      ; 0xd79a4d4d
	;; [unrolled: 1-line block ×5, first 2 shown]
	.long	283769337                       ; 0x10e9f9f9
	.long	100925954                       ; 0x6040202
	.long	2180939647                      ; 0x81fe7f7f
	.long	4037038160                      ; 0xf0a05050
	;; [unrolled: 1-line block ×12, first 2 shown]
	.long	82966005                        ; 0x4f1f5f5
	.long	3747855548                      ; 0xdf63bcbc
	.long	3245848246                      ; 0xc177b6b6
	;; [unrolled: 1-line block ×4, first 2 shown]
	.long	807407632                       ; 0x30201010
	.long	451280895                       ; 0x1ae5ffff
	;; [unrolled: 1-line block ×3, first 2 shown]
	.long	1841287890                      ; 0x6dbfd2d2
	.long	1283575245                      ; 0x4c81cdcd
	.long	337120268                       ; 0x14180c0c
	.long	891687699                       ; 0x35261313
	;; [unrolled: 1-line block ×3, first 2 shown]
	.long	3787349855                      ; 0xe1be5f5f
	.long	2721421207                      ; 0xa2359797
	;; [unrolled: 1-line block ×3, first 2 shown]
	.long	959321879                       ; 0x392e1717
	.long	1469301956                      ; 0x5793c4c4
	.long	4065699751                      ; 0xf255a7a7
	;; [unrolled: 1-line block ×6, first 2 shown]
	.long	724703513                       ; 0x2b321919
	.long	2514908019                      ; 0x95e67373
	.long	2696962144                      ; 0xa0c06060
	;; [unrolled: 1-line block ×10, first 2 shown]
	.long	700968686                       ; 0x29c7eeee
	.long	3547052216                      ; 0xd36bb8b8
	.long	1009259540                      ; 0x3c281414
	;; [unrolled: 1-line block ×4, first 2 shown]
	.long	487983883                       ; 0x1d160b0b
	.long	1991105499                      ; 0x76addbdb
	.long	1004265696                      ; 0x3bdbe0e0
	;; [unrolled: 1-line block ×4, first 2 shown]
	.long	504629770                       ; 0x1e140a0a
	.long	3683797321                      ; 0xdb924949
	.long	168560134                       ; 0xa0c0606
	.long	1816667172                      ; 0x6c482424
	.long	3837287516                      ; 0xe4b85c5c
	;; [unrolled: 1-line block ×8, first 2 shown]
	.long	936633572                       ; 0x37d3e4e4
	.long	2347923833                      ; 0x8bf27979
	.long	852879335                       ; 0x32d5e7e7
	.long	1133234376                      ; 0x438bc8c8
	.long	1500395319                      ; 0x596e3737
	;; [unrolled: 1-line block ×9, first 2 shown]
	.long	133428468                       ; 0x7f3f4f4
	.long	634383082                       ; 0x25cfeaea
	.long	2949277029                      ; 0xafca6565
	.long	2398386810                      ; 0x8ef47a7a
	;; [unrolled: 1-line block ×3, first 2 shown]
	.long	403703816                       ; 0x18100808
	.long	3580869306                      ; 0xd56fbaba
	.long	2297460856                      ; 0x88f07878
	;; [unrolled: 1-line block ×4, first 2 shown]
	.long	607656988                       ; 0x24381c1c
	.long	4049053350                      ; 0xf157a6a6
	.long	3346248884                      ; 0xc773b4b4
	;; [unrolled: 1-line block ×3, first 2 shown]
	.long	600565992                       ; 0x23cbe8e8
	.long	2090982877                      ; 0x7ca1dddd
	.long	2632479860                      ; 0x9ce87474
	.long	557719327                       ; 0x213e1f1f
	.long	3717614411                      ; 0xdd964b4b
	.long	3697393085                      ; 0xdc61bdbd
	;; [unrolled: 1-line block ×9, first 2 shown]
	.long	84280067                        ; 0x5060303
	.long	33027830                        ; 0x1f7f6f6
	.long	303828494                       ; 0x121c0e0e
	.long	2747425121                      ; 0xa3c26161
	.long	1600795957                      ; 0x5f6a3535
	;; [unrolled: 1-line block ×6, first 2 shown]
	.long	658119965                       ; 0x273a1d1d
	.long	3106381470                      ; 0xb9279e9e
	.long	953803233                       ; 0x38d9e1e1
	.long	334231800                       ; 0x13ebf8f8
	.long	3005978776                      ; 0xb32b9898
	.long	857870609                       ; 0x33221111
	.long	3151128937                      ; 0xbbd26969
	.long	1890179545                      ; 0x70a9d9d9
	;; [unrolled: 1-line block ×5, first 2 shown]
	.long	574365214                       ; 0x223c1e1e
	.long	2450884487                      ; 0x92158787
	.long	550103529                       ; 0x20c9e9e9
	.long	1233637070                      ; 0x4987cece
	.long	4289353045                      ; 0xffaa5555
	;; [unrolled: 1-line block ×7, first 2 shown]
	.long	387583245                       ; 0x171a0d0d
	.long	3664101311                      ; 0xda65bfbf
	.long	836232934                       ; 0x31d7e6e6
	.long	3330556482                      ; 0xc6844242
	.long	3100665960                      ; 0xb8d06868
	;; [unrolled: 1-line block ×5, first 2 shown]
	.long	287182607                       ; 0x111e0f0f
	.long	3413881008                      ; 0xcb7bb0b0
	.long	4238890068                      ; 0xfca85454
	;; [unrolled: 1-line block ×3, first 2 shown]
	.long	975967766                       ; 0x3a2c1616
	.size	TS1, 1024

	.protected	TS2                     ; @TS2
	.type	TS2,@object
	.globl	TS2
	.p2align	4, 0x0
TS2:
	.long	1671808611                      ; 0x63a5c663
	.long	2089089148                      ; 0x7c84f87c
	;; [unrolled: 1-line block ×8, first 2 shown]
	.long	810573872                       ; 0x30506030
	.long	16974337                        ; 0x1030201
	.long	1739181671                      ; 0x67a9ce67
	.long	729634347                       ; 0x2b7d562b
	.long	4263110654                      ; 0xfe19e7fe
	.long	3613570519                      ; 0xd762b5d7
	.long	2883997099                      ; 0xabe64dab
	.long	1989864566                      ; 0x769aec76
	.long	3393556426                      ; 0xca458fca
	.long	2191335298                      ; 0x829d1f82
	.long	3376449993                      ; 0xc94089c9
	.long	2106063485                      ; 0x7d87fa7d
	.long	4195741690                      ; 0xfa15effa
	.long	1508618841                      ; 0x59ebb259
	.long	1204391495                      ; 0x47c98e47
	.long	4027317232                      ; 0xf00bfbf0
	.long	2917941677                      ; 0xadec41ad
	.long	3563566036                      ; 0xd467b3d4
	.long	2734514082                      ; 0xa2fd5fa2
	.long	2951366063                      ; 0xafea45af
	.long	2629772188                      ; 0x9cbf239c
	.long	2767672228                      ; 0xa4f753a4
	.long	1922491506                      ; 0x7296e472
	.long	3227229120                      ; 0xc05b9bc0
	.long	3082974647                      ; 0xb7c275b7
	.long	4246528509                      ; 0xfd1ce1fd
	.long	2477669779                      ; 0x93ae3d93
	.long	644500518                       ; 0x266a4c26
	.long	911895606                       ; 0x365a6c36
	.long	1061256767                      ; 0x3f417e3f
	.long	4144166391                      ; 0xf702f5f7
	;; [unrolled: 1-line block ×3, first 2 shown]
	.long	878471220                       ; 0x345c6834
	.long	2784252325                      ; 0xa5f451a5
	.long	3845444069                      ; 0xe534d1e5
	;; [unrolled: 1-line block ×5, first 2 shown]
	.long	827548209                       ; 0x31536231
	.long	356461077                       ; 0x153f2a15
	.long	67897348                        ; 0x40c0804
	.long	3344078279                      ; 0xc75295c7
	.long	593839651                       ; 0x23654623
	.long	3277757891                      ; 0xc35e9dc3
	.long	405286936                       ; 0x18283018
	.long	2527147926                      ; 0x96a13796
	.long	84871685                        ; 0x50f0a05
	.long	2595565466                      ; 0x9ab52f9a
	.long	118033927                       ; 0x7090e07
	.long	305538066                       ; 0x12362412
	.long	2157648768                      ; 0x809b1b80
	.long	3795705826                      ; 0xe23ddfe2
	;; [unrolled: 1-line block ×3, first 2 shown]
	.long	661212711                       ; 0x27694e27
	.long	2999812018                      ; 0xb2cd7fb2
	.long	1973414517                      ; 0x759fea75
	.long	152769033                       ; 0x91b1209
	.long	2208177539                      ; 0x839e1d83
	.long	745822252                       ; 0x2c74582c
	.long	439235610                       ; 0x1a2e341a
	;; [unrolled: 1-line block ×3, first 2 shown]
	.long	1857215598                      ; 0x6eb2dc6e
	.long	1525593178                      ; 0x5aeeb45a
	;; [unrolled: 1-line block ×4, first 2 shown]
	.long	994932283                       ; 0x3b4d763b
	.long	3596728278                      ; 0xd661b7d6
	.long	3016654259                      ; 0xb3ce7db3
	.long	695947817                       ; 0x297b5229
	.long	3812548067                      ; 0xe33edde3
	.long	795958831                       ; 0x2f715e2f
	.long	2224493444                      ; 0x84971384
	.long	1408607827                      ; 0x53f5a653
	;; [unrolled: 1-line block ×3, first 2 shown]
	.long	0                               ; 0x0
	.long	3979133421                      ; 0xed2cc1ed
	.long	543178784                       ; 0x20604020
	.long	4229948412                      ; 0xfc1fe3fc
	.long	2982705585                      ; 0xb1c879b1
	;; [unrolled: 1-line block ×6, first 2 shown]
	.long	961245753                       ; 0x394b7239
	.long	1256100938                      ; 0x4ade944a
	.long	1289001036                      ; 0x4cd4984c
	.long	1491644504                      ; 0x58e8b058
	.long	3477767631                      ; 0xcf4a85cf
	.long	3496721360                      ; 0xd06bbbd0
	.long	4012557807                      ; 0xef2ac5ef
	.long	2867154858                      ; 0xaae54faa
	.long	4212583931                      ; 0xfb16edfb
	.long	1137018435                      ; 0x43c58643
	.long	1305975373                      ; 0x4dd79a4d
	.long	861234739                       ; 0x33556633
	.long	2241073541                      ; 0x85941185
	.long	1171229253                      ; 0x45cf8a45
	;; [unrolled: 1-line block ×3, first 2 shown]
	.long	33948674                        ; 0x2060402
	.long	2139225727                      ; 0x7f81fe7f
	.long	1357946960                      ; 0x50f0a050
	;; [unrolled: 1-line block ×11, first 2 shown]
	.long	944271416                       ; 0x38487038
	.long	4110742005                      ; 0xf504f1f5
	.long	3168756668                      ; 0xbcdf63bc
	.long	3066132406                      ; 0xb6c177b6
	.long	3665145818                      ; 0xda75afda
	.long	560153121                       ; 0x21634221
	.long	271589392                       ; 0x10302010
	.long	4279952895                      ; 0xff1ae5ff
	.long	4077846003                      ; 0xf30efdf3
	.long	3530407890                      ; 0xd26dbfd2
	.long	3444343245                      ; 0xcd4c81cd
	.long	202643468                       ; 0xc14180c
	;; [unrolled: 6-line block ×3, first 2 shown]
	.long	3294073796                      ; 0xc45793c4
	.long	2817676711                      ; 0xa7f255a7
	;; [unrolled: 1-line block ×6, first 2 shown]
	.long	422261273                       ; 0x192b3219
	.long	1939203699                      ; 0x7395e673
	.long	1621147744                      ; 0x60a0c060
	;; [unrolled: 1-line block ×5, first 2 shown]
	.long	577127458                       ; 0x22664422
	.long	712922154                       ; 0x2a7e542a
	.long	2427141008                      ; 0x90ab3b90
	.long	2290289544                      ; 0x88830b88
	;; [unrolled: 1-line block ×5, first 2 shown]
	.long	339486740                       ; 0x143c2814
	.long	3732514782                      ; 0xde79a7de
	.long	1591917662                      ; 0x5ee2bc5e
	.long	186455563                       ; 0xb1d160b
	.long	3681988059                      ; 0xdb76addb
	.long	3762019296                      ; 0xe03bdbe0
	.long	844522546                       ; 0x32566432
	.long	978220090                       ; 0x3a4e743a
	;; [unrolled: 1-line block ×3, first 2 shown]
	.long	1239126601                      ; 0x49db9249
	.long	101321734                       ; 0x60a0c06
	.long	611076132                       ; 0x246c4824
	.long	1558493276                      ; 0x5ce4b85c
	.long	3260915650                      ; 0xc25d9fc2
	;; [unrolled: 1-line block ×11, first 2 shown]
	.long	928607799                       ; 0x37596e37
	.long	1840765549                      ; 0x6db7da6d
	.long	2374762893                      ; 0x8d8c018d
	;; [unrolled: 1-line block ×12, first 2 shown]
	.long	135794696                       ; 0x8181008
	.long	3134549946                      ; 0xbad56fba
	.long	2022240376                      ; 0x7888f078
	.long	628050469                       ; 0x256f4a25
	.long	779246638                       ; 0x2e725c2e
	;; [unrolled: 1-line block ×3, first 2 shown]
	.long	2800834470                      ; 0xa6f157a6
	.long	3032970164                      ; 0xb4c773b4
	;; [unrolled: 1-line block ×6, first 2 shown]
	.long	522272287                       ; 0x1f213e1f
	.long	1272813131                      ; 0x4bdd964b
	.long	3185336765                      ; 0xbddc61bd
	;; [unrolled: 1-line block ×9, first 2 shown]
	.long	50660867                        ; 0x3050603
	.long	4127324150                      ; 0xf601f7f6
	.long	236067854                       ; 0xe121c0e
	.long	1638122081                      ; 0x61a3c261
	.long	895445557                       ; 0x355f6a35
	.long	1475980887                      ; 0x57f9ae57
	.long	3117443513                      ; 0xb9d069b9
	.long	2257655686                      ; 0x86911786
	.long	3243809217                      ; 0xc15899c1
	.long	489110045                       ; 0x1d273a1d
	.long	2662934430                      ; 0x9eb9279e
	.long	3778599393                      ; 0xe138d9e1
	.long	4162055160                      ; 0xf813ebf8
	;; [unrolled: 5-line block ×3, first 2 shown]
	.long	2493985684                      ; 0x94a73394
	.long	2612407707                      ; 0x9bb62d9b
	.long	505560094                       ; 0x1e223c1e
	.long	2274497927                      ; 0x87921587
	.long	3911240169                      ; 0xe920c9e9
	.long	3460925390                      ; 0xce4987ce
	.long	1442818645                      ; 0x55ffaa55
	.long	678973480                       ; 0x28785028
	.long	3749357023                      ; 0xdf7aa5df
	.long	2358182796                      ; 0x8c8f038c
	;; [unrolled: 5-line block ×3, first 2 shown]
	.long	1120306242                      ; 0x42c68442
	.long	1756942440                      ; 0x68b8d068
	;; [unrolled: 1-line block ×4, first 2 shown]
	.long	762796589                       ; 0x2d775a2d
	.long	252780047                       ; 0xf111e0f
	.long	2966125488                      ; 0xb0cb7bb0
	.long	1425844308                      ; 0x54fca854
	;; [unrolled: 1-line block ×3, first 2 shown]
	.long	372911126                       ; 0x163a2c16
	.size	TS2, 1024

	.protected	TS3                     ; @TS3
	.type	TS3,@object
	.globl	TS3
	.p2align	4, 0x0
TS3:
	.long	1667474886                      ; 0x6363a5c6
	.long	2088535288                      ; 0x7c7c84f8
	;; [unrolled: 1-line block ×8, first 2 shown]
	.long	808472672                       ; 0x30305060
	.long	16843522                        ; 0x1010302
	.long	1734846926                      ; 0x6767a9ce
	.long	724270422                       ; 0x2b2b7d56
	.long	4278065639                      ; 0xfefe19e7
	.long	3621216949                      ; 0xd7d762b5
	;; [unrolled: 1-line block ×23, first 2 shown]
	.long	640051788                       ; 0x26266a4c
	.long	909531756                       ; 0x36365a6c
	.long	1061110142                      ; 0x3f3f417e
	.long	4160160501                      ; 0xf7f702f5
	;; [unrolled: 1-line block ×3, first 2 shown]
	.long	875846760                       ; 0x34345c68
	.long	2779116625                      ; 0xa5a5f451
	.long	3857003729                      ; 0xe5e534d1
	;; [unrolled: 1-line block ×5, first 2 shown]
	.long	825316194                       ; 0x31315362
	.long	353713962                       ; 0x15153f2a
	.long	67374088                        ; 0x4040c08
	.long	3351728789                      ; 0xc7c75295
	.long	589522246                       ; 0x23236546
	.long	3284360861                      ; 0xc3c35e9d
	.long	404236336                       ; 0x18182830
	.long	2526454071                      ; 0x9696a137
	.long	84217610                        ; 0x5050f0a
	.long	2593830191                      ; 0x9a9ab52f
	.long	117901582                       ; 0x707090e
	.long	303183396                       ; 0x12123624
	.long	2155911963                      ; 0x80809b1b
	.long	3806477791                      ; 0xe2e23ddf
	;; [unrolled: 1-line block ×3, first 2 shown]
	.long	656894286                       ; 0x2727694e
	.long	2998062463                      ; 0xb2b2cd7f
	.long	1970642922                      ; 0x75759fea
	.long	151591698                       ; 0x9091b12
	.long	2206440989                      ; 0x83839e1d
	.long	741110872                       ; 0x2c2c7458
	.long	437923380                       ; 0x1a1a2e34
	;; [unrolled: 1-line block ×3, first 2 shown]
	.long	1852748508                      ; 0x6e6eb2dc
	.long	1515908788                      ; 0x5a5aeeb4
	;; [unrolled: 1-line block ×4, first 2 shown]
	.long	993742198                       ; 0x3b3b4d76
	.long	3604373943                      ; 0xd6d661b7
	.long	3014905469                      ; 0xb3b3ce7d
	.long	690584402                       ; 0x29297b52
	.long	3823320797                      ; 0xe3e33edd
	.long	791638366                       ; 0x2f2f715e
	.long	2223281939                      ; 0x84849713
	.long	1398011302                      ; 0x5353f5a6
	.long	3520161977                      ; 0xd1d168b9
	.long	0                               ; 0x0
	.long	3991743681                      ; 0xeded2cc1
	.long	538992704                       ; 0x20206040
	.long	4244381667                      ; 0xfcfc1fe3
	.long	2981218425                      ; 0xb1b1c879
	.long	1532751286                      ; 0x5b5bedb6
	.long	1785380564                      ; 0x6a6abed4
	.long	3419096717                      ; 0xcbcb468d
	.long	3200178535                      ; 0xbebed967
	.long	960056178                       ; 0x39394b72
	.long	1246420628                      ; 0x4a4ade94
	.long	1280103576                      ; 0x4c4cd498
	;; [unrolled: 1-line block ×10, first 2 shown]
	.long	859002214                       ; 0x33335566
	.long	2240123921                      ; 0x85859411
	.long	1162203018                      ; 0x4545cf8a
	;; [unrolled: 1-line block ×3, first 2 shown]
	.long	33687044                        ; 0x2020604
	.long	2139062782                      ; 0x7f7f81fe
	.long	1347481760                      ; 0x5050f0a0
	;; [unrolled: 1-line block ×11, first 2 shown]
	.long	943212656                       ; 0x38384870
	.long	4126475505                      ; 0xf5f504f1
	.long	3166494563                      ; 0xbcbcdf63
	.long	3065430391                      ; 0xb6b6c177
	.long	3671750063                      ; 0xdada75af
	.long	555836226                       ; 0x21216342
	.long	269496352                       ; 0x10103020
	.long	4294908645                      ; 0xffff1ae5
	.long	4092792573                      ; 0xf3f30efd
	.long	3537006015                      ; 0xd2d26dbf
	.long	3452783745                      ; 0xcdcd4c81
	.long	202118168                       ; 0xc0c1418
	.long	320025894                       ; 0x13133526
	.long	3974901699                      ; 0xecec2fc3
	.long	1600119230                      ; 0x5f5fe1be
	.long	2543297077                      ; 0x9797a235
	.long	1145359496                      ; 0x4444cc88
	.long	387397934                       ; 0x1717392e
	.long	3301201811                      ; 0xc4c45793
	.long	2812801621                      ; 0xa7a7f255
	;; [unrolled: 1-line block ×6, first 2 shown]
	.long	421079858                       ; 0x19192b32
	.long	1936954854                      ; 0x737395e6
	.long	1616945344                      ; 0x6060a0c0
	;; [unrolled: 1-line block ×5, first 2 shown]
	.long	572679748                       ; 0x22226644
	.long	707427924                       ; 0x2a2a7e54
	.long	2425400123                      ; 0x9090ab3b
	.long	2290647819                      ; 0x8888830b
	;; [unrolled: 1-line block ×5, first 2 shown]
	.long	336870440                       ; 0x14143c28
	.long	3739122087                      ; 0xdede79a7
	.long	1583276732                      ; 0x5e5ee2bc
	.long	185277718                       ; 0xb0b1d16
	.long	3688593069                      ; 0xdbdb76ad
	.long	3772791771                      ; 0xe0e03bdb
	.long	842159716                       ; 0x32325664
	.long	976899700                       ; 0x3a3a4e74
	;; [unrolled: 1-line block ×3, first 2 shown]
	.long	1229577106                      ; 0x4949db92
	.long	101059084                       ; 0x6060a0c
	.long	606366792                       ; 0x24246c48
	.long	1549591736                      ; 0x5c5ce4b8
	.long	3267517855                      ; 0xc2c25d9f
	;; [unrolled: 1-line block ×11, first 2 shown]
	.long	926374254                       ; 0x3737596e
	.long	1835907034                      ; 0x6d6db7da
	.long	2374863873                      ; 0x8d8d8c01
	;; [unrolled: 1-line block ×12, first 2 shown]
	.long	134748176                       ; 0x8081810
	.long	3132806511                      ; 0xbabad56f
	.long	2021165296                      ; 0x787888f0
	.long	623210314                       ; 0x25256f4a
	.long	774795868                       ; 0x2e2e725c
	;; [unrolled: 1-line block ×3, first 2 shown]
	.long	2795958615                      ; 0xa6a6f157
	.long	3031746419                      ; 0xb4b4c773
	;; [unrolled: 1-line block ×6, first 2 shown]
	.long	522133822                       ; 0x1f1f213e
	.long	1263263126                      ; 0x4b4bdd96
	.long	3183336545                      ; 0xbdbddc61
	;; [unrolled: 1-line block ×9, first 2 shown]
	.long	50529542                        ; 0x3030506
	.long	4143317495                      ; 0xf6f601f7
	.long	235803164                       ; 0xe0e121c
	.long	1633788866                      ; 0x6161a3c2
	.long	892690282                       ; 0x35355f6a
	.long	1465383342                      ; 0x5757f9ae
	.long	3115962473                      ; 0xb9b9d069
	.long	2256965911                      ; 0x86869117
	.long	3250673817                      ; 0xc1c15899
	.long	488449850                       ; 0x1d1d273a
	.long	2661202215                      ; 0x9e9eb927
	.long	3789633753                      ; 0xe1e138d9
	.long	4177007595                      ; 0xf8f813eb
	.long	2560144171                      ; 0x9898b32b
	.long	286339874                       ; 0x11113322
	.long	1768537042                      ; 0x6969bbd2
	.long	3654906025                      ; 0xd9d970a9
	.long	2391705863                      ; 0x8e8e8907
	.long	2492770099                      ; 0x9494a733
	.long	2610673197                      ; 0x9b9bb62d
	.long	505291324                       ; 0x1e1e223c
	.long	2273808917                      ; 0x87879215
	.long	3924369609                      ; 0xe9e920c9
	.long	3469625735                      ; 0xcece4987
	.long	1431699370                      ; 0x5555ffaa
	.long	673740880                       ; 0x28287850
	.long	3755965093                      ; 0xdfdf7aa5
	.long	2358021891                      ; 0x8c8c8f03
	;; [unrolled: 5-line block ×3, first 2 shown]
	.long	1111672452                      ; 0x4242c684
	.long	1751693520                      ; 0x6868b8d0
	;; [unrolled: 1-line block ×4, first 2 shown]
	.long	757954394                       ; 0x2d2d775a
	.long	252645662                       ; 0xf0f111e
	.long	2964376443                      ; 0xb0b0cb7b
	.long	1414855848                      ; 0x5454fca8
	;; [unrolled: 1-line block ×3, first 2 shown]
	.long	370555436                       ; 0x16163a2c
	.size	TS3, 1024

	.type	__hip_cuid_15d8fd4ae126fb24,@object ; @__hip_cuid_15d8fd4ae126fb24
	.section	.bss,"aw",@nobits
	.globl	__hip_cuid_15d8fd4ae126fb24
__hip_cuid_15d8fd4ae126fb24:
	.byte	0                               ; 0x0
	.size	__hip_cuid_15d8fd4ae126fb24, 1

	.ident	"AMD clang version 22.0.0git (https://github.com/RadeonOpenCompute/llvm-project roc-7.2.4 26084 f58b06dce1f9c15707c5f808fd002e18c2accf7e)"
	.section	".note.GNU-stack","",@progbits
	.addrsig
	.addrsig_sym TS0
	.addrsig_sym TS1
	.addrsig_sym TS2
	.addrsig_sym TS3
	.addrsig_sym __hip_cuid_15d8fd4ae126fb24
	.amdgpu_metadata
---
amdhsa.kernels:
  - .args:
      - .offset:         0
        .size:           4
        .value_kind:     by_value
      - .address_space:  global
        .offset:         8
        .size:           8
        .value_kind:     global_buffer
      - .actual_access:  read_only
        .address_space:  global
        .offset:         16
        .size:           8
        .value_kind:     global_buffer
      - .actual_access:  read_only
        .address_space:  global
        .offset:         24
        .size:           8
        .value_kind:     global_buffer
      - .actual_access:  read_only
        .address_space:  global
        .offset:         32
        .size:           8
        .value_kind:     global_buffer
      - .actual_access:  read_only
        .address_space:  global
        .offset:         40
        .size:           8
        .value_kind:     global_buffer
      - .actual_access:  read_only
        .address_space:  global
        .offset:         48
        .size:           8
        .value_kind:     global_buffer
      - .offset:         56
        .size:           4
        .value_kind:     by_value
      - .offset:         60
        .size:           4
        .value_kind:     by_value
      - .offset:         64
        .size:           4
        .value_kind:     by_value
      - .offset:         68
        .size:           4
        .value_kind:     by_value
      - .offset:         72
        .size:           4
        .value_kind:     by_value
      - .offset:         76
        .size:           4
        .value_kind:     by_value
      - .offset:         80
        .size:           4
        .value_kind:     by_value
      - .offset:         84
        .size:           4
        .value_kind:     by_value
      - .actual_access:  read_only
        .address_space:  global
        .offset:         88
        .size:           8
        .value_kind:     global_buffer
      - .actual_access:  read_only
        .address_space:  global
        .offset:         96
        .size:           8
        .value_kind:     global_buffer
      - .offset:         104
        .size:           4
        .value_kind:     hidden_block_count_x
      - .offset:         108
        .size:           4
        .value_kind:     hidden_block_count_y
      - .offset:         112
        .size:           4
        .value_kind:     hidden_block_count_z
      - .offset:         116
        .size:           2
        .value_kind:     hidden_group_size_x
      - .offset:         118
        .size:           2
        .value_kind:     hidden_group_size_y
      - .offset:         120
        .size:           2
        .value_kind:     hidden_group_size_z
      - .offset:         122
        .size:           2
        .value_kind:     hidden_remainder_x
      - .offset:         124
        .size:           2
        .value_kind:     hidden_remainder_y
      - .offset:         126
        .size:           2
        .value_kind:     hidden_remainder_z
      - .offset:         144
        .size:           8
        .value_kind:     hidden_global_offset_x
      - .offset:         152
        .size:           8
        .value_kind:     hidden_global_offset_y
      - .offset:         160
        .size:           8
        .value_kind:     hidden_global_offset_z
      - .offset:         168
        .size:           2
        .value_kind:     hidden_grid_dims
    .group_segment_fixed_size: 0
    .kernarg_segment_align: 8
    .kernarg_segment_size: 360
    .language:       OpenCL C
    .language_version:
      - 2
      - 0
    .max_flat_workgroup_size: 1024
    .name:           _Z20decrypt_vmk_with_macjPiPKhS1_S1_S1_S1_iiiijjjjPKjS3_
    .private_segment_fixed_size: 0
    .sgpr_count:     46
    .sgpr_spill_count: 0
    .symbol:         _Z20decrypt_vmk_with_macjPiPKhS1_S1_S1_S1_iiiijjjjPKjS3_.kd
    .uniform_work_group_size: 1
    .uses_dynamic_stack: false
    .vgpr_count:     95
    .vgpr_spill_count: 0
    .wavefront_size: 32
amdhsa.target:   amdgcn-amd-amdhsa--gfx1250
amdhsa.version:
  - 1
  - 2
...

	.end_amdgpu_metadata
